;; amdgpu-corpus repo=ROCm/rocFFT kind=compiled arch=gfx1100 opt=O3
	.text
	.amdgcn_target "amdgcn-amd-amdhsa--gfx1100"
	.amdhsa_code_object_version 6
	.protected	fft_rtc_fwd_len3000_factors_10_3_10_10_wgs_100_tpt_100_halfLds_sp_op_CI_CI_unitstride_sbrr_dirReg ; -- Begin function fft_rtc_fwd_len3000_factors_10_3_10_10_wgs_100_tpt_100_halfLds_sp_op_CI_CI_unitstride_sbrr_dirReg
	.globl	fft_rtc_fwd_len3000_factors_10_3_10_10_wgs_100_tpt_100_halfLds_sp_op_CI_CI_unitstride_sbrr_dirReg
	.p2align	8
	.type	fft_rtc_fwd_len3000_factors_10_3_10_10_wgs_100_tpt_100_halfLds_sp_op_CI_CI_unitstride_sbrr_dirReg,@function
fft_rtc_fwd_len3000_factors_10_3_10_10_wgs_100_tpt_100_halfLds_sp_op_CI_CI_unitstride_sbrr_dirReg: ; @fft_rtc_fwd_len3000_factors_10_3_10_10_wgs_100_tpt_100_halfLds_sp_op_CI_CI_unitstride_sbrr_dirReg
; %bb.0:
	s_clause 0x2
	s_load_b128 s[8:11], s[0:1], 0x0
	s_load_b128 s[4:7], s[0:1], 0x58
	;; [unrolled: 1-line block ×3, first 2 shown]
	v_mul_u32_u24_e32 v1, 0x290, v0
	v_mov_b32_e32 v18, 0
	v_mov_b32_e32 v19, 0
	s_delay_alu instid0(VALU_DEP_3) | instskip(SKIP_1) | instid1(VALU_DEP_1)
	v_lshrrev_b32_e32 v2, 16, v1
	v_mov_b32_e32 v1, 0
	v_dual_mov_b32 v4, v1 :: v_dual_add_nc_u32 v3, s15, v2
	s_waitcnt lgkmcnt(0)
	v_cmp_lt_u64_e64 s2, s[10:11], 2
	s_delay_alu instid0(VALU_DEP_1)
	s_and_b32 vcc_lo, exec_lo, s2
	s_cbranch_vccnz .LBB0_8
; %bb.1:
	s_load_b64 s[2:3], s[0:1], 0x10
	v_mov_b32_e32 v18, 0
	v_mov_b32_e32 v19, 0
	s_add_u32 s12, s18, 8
	s_addc_u32 s13, s19, 0
	s_add_u32 s14, s16, 8
	s_addc_u32 s15, s17, 0
	v_dual_mov_b32 v41, v19 :: v_dual_mov_b32 v40, v18
	s_mov_b64 s[22:23], 1
	s_waitcnt lgkmcnt(0)
	s_add_u32 s20, s2, 8
	s_addc_u32 s21, s3, 0
.LBB0_2:                                ; =>This Inner Loop Header: Depth=1
	s_load_b64 s[24:25], s[20:21], 0x0
                                        ; implicit-def: $vgpr16_vgpr17
	s_mov_b32 s2, exec_lo
	s_waitcnt lgkmcnt(0)
	v_or_b32_e32 v2, s25, v4
	s_delay_alu instid0(VALU_DEP_1)
	v_cmpx_ne_u64_e32 0, v[1:2]
	s_xor_b32 s3, exec_lo, s2
	s_cbranch_execz .LBB0_4
; %bb.3:                                ;   in Loop: Header=BB0_2 Depth=1
	v_cvt_f32_u32_e32 v2, s24
	v_cvt_f32_u32_e32 v5, s25
	s_sub_u32 s2, 0, s24
	s_subb_u32 s26, 0, s25
	s_delay_alu instid0(VALU_DEP_1) | instskip(NEXT) | instid1(VALU_DEP_1)
	v_fmac_f32_e32 v2, 0x4f800000, v5
	v_rcp_f32_e32 v2, v2
	s_waitcnt_depctr 0xfff
	v_mul_f32_e32 v2, 0x5f7ffffc, v2
	s_delay_alu instid0(VALU_DEP_1) | instskip(NEXT) | instid1(VALU_DEP_1)
	v_mul_f32_e32 v5, 0x2f800000, v2
	v_trunc_f32_e32 v5, v5
	s_delay_alu instid0(VALU_DEP_1) | instskip(SKIP_1) | instid1(VALU_DEP_2)
	v_fmac_f32_e32 v2, 0xcf800000, v5
	v_cvt_u32_f32_e32 v5, v5
	v_cvt_u32_f32_e32 v2, v2
	s_delay_alu instid0(VALU_DEP_2) | instskip(NEXT) | instid1(VALU_DEP_2)
	v_mul_lo_u32 v6, s2, v5
	v_mul_hi_u32 v7, s2, v2
	v_mul_lo_u32 v8, s26, v2
	s_delay_alu instid0(VALU_DEP_2) | instskip(SKIP_1) | instid1(VALU_DEP_2)
	v_add_nc_u32_e32 v6, v7, v6
	v_mul_lo_u32 v7, s2, v2
	v_add_nc_u32_e32 v6, v6, v8
	s_delay_alu instid0(VALU_DEP_2) | instskip(NEXT) | instid1(VALU_DEP_2)
	v_mul_hi_u32 v8, v2, v7
	v_mul_lo_u32 v9, v2, v6
	v_mul_hi_u32 v10, v2, v6
	v_mul_hi_u32 v11, v5, v7
	v_mul_lo_u32 v7, v5, v7
	v_mul_hi_u32 v12, v5, v6
	v_mul_lo_u32 v6, v5, v6
	v_add_co_u32 v8, vcc_lo, v8, v9
	v_add_co_ci_u32_e32 v9, vcc_lo, 0, v10, vcc_lo
	s_delay_alu instid0(VALU_DEP_2) | instskip(NEXT) | instid1(VALU_DEP_2)
	v_add_co_u32 v7, vcc_lo, v8, v7
	v_add_co_ci_u32_e32 v7, vcc_lo, v9, v11, vcc_lo
	v_add_co_ci_u32_e32 v8, vcc_lo, 0, v12, vcc_lo
	s_delay_alu instid0(VALU_DEP_2) | instskip(NEXT) | instid1(VALU_DEP_2)
	v_add_co_u32 v6, vcc_lo, v7, v6
	v_add_co_ci_u32_e32 v7, vcc_lo, 0, v8, vcc_lo
	s_delay_alu instid0(VALU_DEP_2) | instskip(NEXT) | instid1(VALU_DEP_2)
	v_add_co_u32 v2, vcc_lo, v2, v6
	v_add_co_ci_u32_e32 v5, vcc_lo, v5, v7, vcc_lo
	s_delay_alu instid0(VALU_DEP_2) | instskip(SKIP_1) | instid1(VALU_DEP_3)
	v_mul_hi_u32 v6, s2, v2
	v_mul_lo_u32 v8, s26, v2
	v_mul_lo_u32 v7, s2, v5
	s_delay_alu instid0(VALU_DEP_1) | instskip(SKIP_1) | instid1(VALU_DEP_2)
	v_add_nc_u32_e32 v6, v6, v7
	v_mul_lo_u32 v7, s2, v2
	v_add_nc_u32_e32 v6, v6, v8
	s_delay_alu instid0(VALU_DEP_2) | instskip(NEXT) | instid1(VALU_DEP_2)
	v_mul_hi_u32 v8, v2, v7
	v_mul_lo_u32 v9, v2, v6
	v_mul_hi_u32 v10, v2, v6
	v_mul_hi_u32 v11, v5, v7
	v_mul_lo_u32 v7, v5, v7
	v_mul_hi_u32 v12, v5, v6
	v_mul_lo_u32 v6, v5, v6
	v_add_co_u32 v8, vcc_lo, v8, v9
	v_add_co_ci_u32_e32 v9, vcc_lo, 0, v10, vcc_lo
	s_delay_alu instid0(VALU_DEP_2) | instskip(NEXT) | instid1(VALU_DEP_2)
	v_add_co_u32 v7, vcc_lo, v8, v7
	v_add_co_ci_u32_e32 v7, vcc_lo, v9, v11, vcc_lo
	v_add_co_ci_u32_e32 v8, vcc_lo, 0, v12, vcc_lo
	s_delay_alu instid0(VALU_DEP_2) | instskip(NEXT) | instid1(VALU_DEP_2)
	v_add_co_u32 v6, vcc_lo, v7, v6
	v_add_co_ci_u32_e32 v7, vcc_lo, 0, v8, vcc_lo
	s_delay_alu instid0(VALU_DEP_2) | instskip(NEXT) | instid1(VALU_DEP_2)
	v_add_co_u32 v2, vcc_lo, v2, v6
	v_add_co_ci_u32_e32 v11, vcc_lo, v5, v7, vcc_lo
	s_delay_alu instid0(VALU_DEP_2) | instskip(SKIP_1) | instid1(VALU_DEP_3)
	v_mul_hi_u32 v12, v3, v2
	v_mad_u64_u32 v[7:8], null, v4, v2, 0
	v_mad_u64_u32 v[5:6], null, v3, v11, 0
	;; [unrolled: 1-line block ×3, first 2 shown]
	s_delay_alu instid0(VALU_DEP_2) | instskip(NEXT) | instid1(VALU_DEP_3)
	v_add_co_u32 v2, vcc_lo, v12, v5
	v_add_co_ci_u32_e32 v5, vcc_lo, 0, v6, vcc_lo
	s_delay_alu instid0(VALU_DEP_2) | instskip(NEXT) | instid1(VALU_DEP_2)
	v_add_co_u32 v2, vcc_lo, v2, v7
	v_add_co_ci_u32_e32 v2, vcc_lo, v5, v8, vcc_lo
	v_add_co_ci_u32_e32 v5, vcc_lo, 0, v10, vcc_lo
	s_delay_alu instid0(VALU_DEP_2) | instskip(NEXT) | instid1(VALU_DEP_2)
	v_add_co_u32 v2, vcc_lo, v2, v9
	v_add_co_ci_u32_e32 v7, vcc_lo, 0, v5, vcc_lo
	s_delay_alu instid0(VALU_DEP_2) | instskip(SKIP_1) | instid1(VALU_DEP_3)
	v_mul_lo_u32 v8, s25, v2
	v_mad_u64_u32 v[5:6], null, s24, v2, 0
	v_mul_lo_u32 v9, s24, v7
	s_delay_alu instid0(VALU_DEP_2) | instskip(NEXT) | instid1(VALU_DEP_2)
	v_sub_co_u32 v5, vcc_lo, v3, v5
	v_add3_u32 v6, v6, v9, v8
	s_delay_alu instid0(VALU_DEP_1) | instskip(NEXT) | instid1(VALU_DEP_1)
	v_sub_nc_u32_e32 v8, v4, v6
	v_subrev_co_ci_u32_e64 v8, s2, s25, v8, vcc_lo
	v_add_co_u32 v9, s2, v2, 2
	s_delay_alu instid0(VALU_DEP_1) | instskip(SKIP_3) | instid1(VALU_DEP_3)
	v_add_co_ci_u32_e64 v10, s2, 0, v7, s2
	v_sub_co_u32 v11, s2, v5, s24
	v_sub_co_ci_u32_e32 v6, vcc_lo, v4, v6, vcc_lo
	v_subrev_co_ci_u32_e64 v8, s2, 0, v8, s2
	v_cmp_le_u32_e32 vcc_lo, s24, v11
	s_delay_alu instid0(VALU_DEP_3) | instskip(SKIP_1) | instid1(VALU_DEP_4)
	v_cmp_eq_u32_e64 s2, s25, v6
	v_cndmask_b32_e64 v11, 0, -1, vcc_lo
	v_cmp_le_u32_e32 vcc_lo, s25, v8
	v_cndmask_b32_e64 v12, 0, -1, vcc_lo
	v_cmp_le_u32_e32 vcc_lo, s24, v5
	;; [unrolled: 2-line block ×3, first 2 shown]
	v_cndmask_b32_e64 v13, 0, -1, vcc_lo
	v_cmp_eq_u32_e32 vcc_lo, s25, v8
	s_delay_alu instid0(VALU_DEP_2) | instskip(SKIP_3) | instid1(VALU_DEP_3)
	v_cndmask_b32_e64 v5, v13, v5, s2
	v_cndmask_b32_e32 v8, v12, v11, vcc_lo
	v_add_co_u32 v11, vcc_lo, v2, 1
	v_add_co_ci_u32_e32 v12, vcc_lo, 0, v7, vcc_lo
	v_cmp_ne_u32_e32 vcc_lo, 0, v8
	s_delay_alu instid0(VALU_DEP_2) | instskip(NEXT) | instid1(VALU_DEP_4)
	v_cndmask_b32_e32 v6, v12, v10, vcc_lo
	v_cndmask_b32_e32 v8, v11, v9, vcc_lo
	v_cmp_ne_u32_e32 vcc_lo, 0, v5
	s_delay_alu instid0(VALU_DEP_2)
	v_dual_cndmask_b32 v17, v7, v6 :: v_dual_cndmask_b32 v16, v2, v8
.LBB0_4:                                ;   in Loop: Header=BB0_2 Depth=1
	s_and_not1_saveexec_b32 s2, s3
	s_cbranch_execz .LBB0_6
; %bb.5:                                ;   in Loop: Header=BB0_2 Depth=1
	v_cvt_f32_u32_e32 v2, s24
	s_sub_i32 s3, 0, s24
	v_mov_b32_e32 v17, v1
	s_delay_alu instid0(VALU_DEP_2) | instskip(SKIP_2) | instid1(VALU_DEP_1)
	v_rcp_iflag_f32_e32 v2, v2
	s_waitcnt_depctr 0xfff
	v_mul_f32_e32 v2, 0x4f7ffffe, v2
	v_cvt_u32_f32_e32 v2, v2
	s_delay_alu instid0(VALU_DEP_1) | instskip(NEXT) | instid1(VALU_DEP_1)
	v_mul_lo_u32 v5, s3, v2
	v_mul_hi_u32 v5, v2, v5
	s_delay_alu instid0(VALU_DEP_1) | instskip(NEXT) | instid1(VALU_DEP_1)
	v_add_nc_u32_e32 v2, v2, v5
	v_mul_hi_u32 v2, v3, v2
	s_delay_alu instid0(VALU_DEP_1) | instskip(SKIP_1) | instid1(VALU_DEP_2)
	v_mul_lo_u32 v5, v2, s24
	v_add_nc_u32_e32 v6, 1, v2
	v_sub_nc_u32_e32 v5, v3, v5
	s_delay_alu instid0(VALU_DEP_1) | instskip(SKIP_1) | instid1(VALU_DEP_2)
	v_subrev_nc_u32_e32 v7, s24, v5
	v_cmp_le_u32_e32 vcc_lo, s24, v5
	v_dual_cndmask_b32 v5, v5, v7 :: v_dual_cndmask_b32 v2, v2, v6
	s_delay_alu instid0(VALU_DEP_1) | instskip(NEXT) | instid1(VALU_DEP_2)
	v_cmp_le_u32_e32 vcc_lo, s24, v5
	v_add_nc_u32_e32 v6, 1, v2
	s_delay_alu instid0(VALU_DEP_1)
	v_cndmask_b32_e32 v16, v2, v6, vcc_lo
.LBB0_6:                                ;   in Loop: Header=BB0_2 Depth=1
	s_or_b32 exec_lo, exec_lo, s2
	s_delay_alu instid0(VALU_DEP_1) | instskip(NEXT) | instid1(VALU_DEP_2)
	v_mul_lo_u32 v2, v17, s24
	v_mul_lo_u32 v7, v16, s25
	s_load_b64 s[2:3], s[14:15], 0x0
	v_mad_u64_u32 v[5:6], null, v16, s24, 0
	s_load_b64 s[24:25], s[12:13], 0x0
	s_add_u32 s22, s22, 1
	s_addc_u32 s23, s23, 0
	s_add_u32 s12, s12, 8
	s_addc_u32 s13, s13, 0
	s_add_u32 s14, s14, 8
	s_delay_alu instid0(VALU_DEP_1) | instskip(SKIP_3) | instid1(VALU_DEP_2)
	v_add3_u32 v2, v6, v7, v2
	v_sub_co_u32 v6, vcc_lo, v3, v5
	s_addc_u32 s15, s15, 0
	s_add_u32 s20, s20, 8
	v_sub_co_ci_u32_e32 v4, vcc_lo, v4, v2, vcc_lo
	s_addc_u32 s21, s21, 0
	s_waitcnt lgkmcnt(0)
	s_delay_alu instid0(VALU_DEP_1)
	v_mul_lo_u32 v7, s2, v4
	v_mul_lo_u32 v8, s3, v6
	v_mad_u64_u32 v[2:3], null, s2, v6, v[18:19]
	v_mul_lo_u32 v9, s24, v4
	v_mul_lo_u32 v10, s25, v6
	v_mad_u64_u32 v[4:5], null, s24, v6, v[40:41]
	v_cmp_ge_u64_e64 s2, s[22:23], s[10:11]
	v_add3_u32 v19, v8, v3, v7
	v_mov_b32_e32 v18, v2
	s_delay_alu instid0(VALU_DEP_4)
	v_add3_u32 v41, v10, v5, v9
	v_mov_b32_e32 v40, v4
	s_and_b32 vcc_lo, exec_lo, s2
	s_cbranch_vccnz .LBB0_9
; %bb.7:                                ;   in Loop: Header=BB0_2 Depth=1
	v_dual_mov_b32 v3, v16 :: v_dual_mov_b32 v4, v17
	s_branch .LBB0_2
.LBB0_8:
	v_dual_mov_b32 v41, v19 :: v_dual_mov_b32 v40, v18
	v_dual_mov_b32 v17, v4 :: v_dual_mov_b32 v16, v3
.LBB0_9:
	s_load_b64 s[0:1], s[0:1], 0x28
	v_mul_hi_u32 v2, 0x28f5c29, v0
	s_lshl_b64 s[10:11], s[10:11], 3
                                        ; implicit-def: $vgpr106
	s_delay_alu instid0(SALU_CYCLE_1) | instskip(SKIP_4) | instid1(VALU_DEP_1)
	s_add_u32 s2, s18, s10
	s_addc_u32 s3, s19, s11
	s_waitcnt lgkmcnt(0)
	v_cmp_gt_u64_e32 vcc_lo, s[0:1], v[16:17]
	v_cmp_le_u64_e64 s0, s[0:1], v[16:17]
	s_and_saveexec_b32 s1, s0
	s_delay_alu instid0(SALU_CYCLE_1)
	s_xor_b32 s0, exec_lo, s1
; %bb.10:
	v_mul_u32_u24_e32 v1, 0x64, v2
                                        ; implicit-def: $vgpr2
                                        ; implicit-def: $vgpr18_vgpr19
	s_delay_alu instid0(VALU_DEP_1)
	v_sub_nc_u32_e32 v106, v0, v1
                                        ; implicit-def: $vgpr0
; %bb.11:
	s_or_saveexec_b32 s1, s0
                                        ; implicit-def: $vgpr5
                                        ; implicit-def: $vgpr31
                                        ; implicit-def: $vgpr9
                                        ; implicit-def: $vgpr29
                                        ; implicit-def: $vgpr11
                                        ; implicit-def: $vgpr25
                                        ; implicit-def: $vgpr7
                                        ; implicit-def: $vgpr23
                                        ; implicit-def: $vgpr3
                                        ; implicit-def: $vgpr1
                                        ; implicit-def: $vgpr39
                                        ; implicit-def: $vgpr59
                                        ; implicit-def: $vgpr45
                                        ; implicit-def: $vgpr57
                                        ; implicit-def: $vgpr37
                                        ; implicit-def: $vgpr63
                                        ; implicit-def: $vgpr43
                                        ; implicit-def: $vgpr61
                                        ; implicit-def: $vgpr35
                                        ; implicit-def: $vgpr33
                                        ; implicit-def: $vgpr20
                                        ; implicit-def: $vgpr51
                                        ; implicit-def: $vgpr49
                                        ; implicit-def: $vgpr65
                                        ; implicit-def: $vgpr47
                                        ; implicit-def: $vgpr53
                                        ; implicit-def: $vgpr27
                                        ; implicit-def: $vgpr55
                                        ; implicit-def: $vgpr15
                                        ; implicit-def: $vgpr13
	s_delay_alu instid0(SALU_CYCLE_1)
	s_xor_b32 exec_lo, exec_lo, s1
	s_cbranch_execz .LBB0_13
; %bb.12:
	s_add_u32 s10, s16, s10
	s_addc_u32 s11, s17, s11
	s_load_b64 s[10:11], s[10:11], 0x0
	s_waitcnt lgkmcnt(0)
	v_mul_lo_u32 v1, s11, v16
	v_mul_lo_u32 v5, s10, v17
	v_mad_u64_u32 v[3:4], null, s10, v16, 0
	s_delay_alu instid0(VALU_DEP_1) | instskip(SKIP_1) | instid1(VALU_DEP_2)
	v_add3_u32 v4, v4, v5, v1
	v_mul_u32_u24_e32 v5, 0x64, v2
	v_lshlrev_b64 v[1:2], 3, v[3:4]
	v_lshlrev_b64 v[3:4], 3, v[18:19]
	s_delay_alu instid0(VALU_DEP_3) | instskip(NEXT) | instid1(VALU_DEP_3)
	v_sub_nc_u32_e32 v106, v0, v5
	v_add_co_u32 v0, s0, s4, v1
	s_delay_alu instid0(VALU_DEP_1) | instskip(NEXT) | instid1(VALU_DEP_3)
	v_add_co_ci_u32_e64 v1, s0, s5, v2, s0
	v_lshlrev_b32_e32 v2, 3, v106
	s_delay_alu instid0(VALU_DEP_3) | instskip(NEXT) | instid1(VALU_DEP_1)
	v_add_co_u32 v0, s0, v0, v3
	v_add_co_ci_u32_e64 v1, s0, v1, v4, s0
	s_delay_alu instid0(VALU_DEP_2) | instskip(NEXT) | instid1(VALU_DEP_1)
	v_add_co_u32 v2, s0, v0, v2
	v_add_co_ci_u32_e64 v3, s0, 0, v1, s0
	s_delay_alu instid0(VALU_DEP_2) | instskip(NEXT) | instid1(VALU_DEP_1)
	v_add_co_u32 v4, s0, 0x1000, v2
	v_add_co_ci_u32_e64 v5, s0, 0, v3, s0
	v_add_co_u32 v8, s0, 0x2000, v2
	s_delay_alu instid0(VALU_DEP_1) | instskip(SKIP_1) | instid1(VALU_DEP_1)
	v_add_co_ci_u32_e64 v9, s0, 0, v3, s0
	v_add_co_u32 v18, s0, 0x3000, v2
	v_add_co_ci_u32_e64 v19, s0, 0, v3, s0
	v_add_co_u32 v20, s0, 0x4000, v2
	s_delay_alu instid0(VALU_DEP_1) | instskip(SKIP_1) | instid1(VALU_DEP_1)
	v_add_co_ci_u32_e64 v21, s0, 0, v3, s0
	v_add_co_u32 v66, s0, 0x5000, v2
	v_add_co_ci_u32_e64 v67, s0, 0, v3, s0
	s_clause 0x1d
	global_load_b64 v[12:13], v[2:3], off
	global_load_b64 v[32:33], v[2:3], off offset:800
	global_load_b64 v[34:35], v[2:3], off offset:3200
	global_load_b64 v[14:15], v[2:3], off offset:2400
	global_load_b64 v[0:1], v[2:3], off offset:1600
	global_load_b64 v[60:61], v[4:5], off offset:1504
	global_load_b64 v[52:53], v[8:9], off offset:1408
	global_load_b64 v[62:63], v[8:9], off offset:2208
	global_load_b64 v[36:37], v[18:19], off offset:512
	global_load_b64 v[56:57], v[18:19], off offset:2912
	global_load_b64 v[50:51], v[20:21], off offset:2816
	global_load_b64 v[58:59], v[20:21], off offset:3616
	global_load_b64 v[54:55], v[4:5], off offset:704
	global_load_b64 v[2:3], v[2:3], off offset:4000
	global_load_b64 v[42:43], v[4:5], off offset:3904
	global_load_b64 v[6:7], v[8:9], off offset:608
	global_load_b64 v[26:27], v[4:5], off offset:3104
	global_load_b64 v[22:23], v[4:5], off offset:2304
	global_load_b64 v[46:47], v[8:9], off offset:3808
	global_load_b64 v[24:25], v[8:9], off offset:3008
	global_load_b64 v[64:65], v[18:19], off offset:2112
	global_load_b64 v[10:11], v[18:19], off offset:1312
	global_load_b64 v[44:45], v[20:21], off offset:1216
	global_load_b64 v[8:9], v[20:21], off offset:2016
	global_load_b64 v[48:49], v[20:21], off offset:416
	global_load_b64 v[28:29], v[18:19], off offset:3712
	global_load_b64 v[19:20], v[66:67], off offset:1120
	global_load_b64 v[30:31], v[66:67], off offset:320
	global_load_b64 v[38:39], v[66:67], off offset:1920
	global_load_b64 v[4:5], v[66:67], off offset:2720
.LBB0_13:
	s_or_b32 exec_lo, exec_lo, s1
	s_waitcnt vmcnt(9)
	v_dual_add_f32 v18, v64, v52 :: v_dual_sub_f32 v67, v53, v65
	v_dual_add_f32 v21, v54, v12 :: v_dual_sub_f32 v66, v55, v51
	v_dual_sub_f32 v69, v50, v64 :: v_dual_sub_f32 v72, v52, v54
	s_delay_alu instid0(VALU_DEP_3) | instskip(NEXT) | instid1(VALU_DEP_3)
	v_fma_f32 v68, -0.5, v18, v12
	v_dual_sub_f32 v18, v54, v52 :: v_dual_add_f32 v21, v52, v21
	v_add_f32_e32 v70, v50, v54
	s_load_b64 s[0:1], s[2:3], 0x0
	s_delay_alu instid0(VALU_DEP_2) | instskip(NEXT) | instid1(VALU_DEP_3)
	v_dual_fmamk_f32 v71, v66, 0x3f737871, v68 :: v_dual_add_f32 v18, v69, v18
	v_dual_add_f32 v21, v64, v21 :: v_dual_fmac_f32 v68, 0xbf737871, v66
	s_delay_alu instid0(VALU_DEP_2) | instskip(SKIP_1) | instid1(VALU_DEP_3)
	v_dual_fmac_f32 v12, -0.5, v70 :: v_dual_fmac_f32 v71, 0x3f167918, v67
	v_add_f32_e32 v73, v55, v13
	v_dual_add_f32 v21, v50, v21 :: v_dual_fmac_f32 v68, 0xbf167918, v67
	s_delay_alu instid0(VALU_DEP_3) | instskip(NEXT) | instid1(VALU_DEP_4)
	v_dual_sub_f32 v69, v64, v50 :: v_dual_fmamk_f32 v70, v67, 0xbf737871, v12
	v_dual_fmac_f32 v71, 0x3e9e377a, v18 :: v_dual_add_f32 v74, v65, v53
	s_delay_alu instid0(VALU_DEP_4) | instskip(NEXT) | instid1(VALU_DEP_3)
	v_dual_fmac_f32 v12, 0x3f737871, v67 :: v_dual_add_f32 v67, v53, v73
	v_dual_fmac_f32 v70, 0x3f167918, v66 :: v_dual_add_f32 v69, v69, v72
	s_delay_alu instid0(VALU_DEP_3)
	v_fma_f32 v72, -0.5, v74, v13
	v_sub_f32_e32 v50, v54, v50
	v_fmac_f32_e32 v68, 0x3e9e377a, v18
	v_fmac_f32_e32 v12, 0xbf167918, v66
	v_sub_f32_e32 v52, v52, v64
	v_add_f32_e32 v54, v51, v55
	v_dual_sub_f32 v64, v55, v53 :: v_dual_sub_f32 v53, v53, v55
	v_dual_sub_f32 v55, v26, v46 :: v_dual_add_f32 v18, v65, v67
	s_delay_alu instid0(VALU_DEP_3) | instskip(SKIP_1) | instid1(VALU_DEP_3)
	v_dual_fmac_f32 v70, 0x3e9e377a, v69 :: v_dual_fmac_f32 v13, -0.5, v54
	v_dual_sub_f32 v67, v51, v65 :: v_dual_fmamk_f32 v66, v50, 0xbf737871, v72
	v_dual_fmac_f32 v12, 0x3e9e377a, v69 :: v_dual_add_f32 v69, v51, v18
	v_sub_f32_e32 v51, v65, v51
	s_waitcnt vmcnt(3)
	v_dual_sub_f32 v65, v19, v48 :: v_dual_add_f32 v54, v48, v46
	s_delay_alu instid0(VALU_DEP_2) | instskip(NEXT) | instid1(VALU_DEP_2)
	v_dual_fmac_f32 v72, 0x3f737871, v50 :: v_dual_add_f32 v51, v51, v53
	v_add_f32_e32 v55, v65, v55
	s_delay_alu instid0(VALU_DEP_3)
	v_fma_f32 v53, -0.5, v54, v14
	v_dual_sub_f32 v54, v27, v20 :: v_dual_sub_f32 v65, v46, v26
	v_add_f32_e32 v18, v67, v64
	v_fmamk_f32 v64, v52, 0x3f737871, v13
	v_fmac_f32_e32 v13, 0xbf737871, v52
	v_add_f32_e32 v67, v19, v26
	s_delay_alu instid0(VALU_DEP_3) | instskip(NEXT) | instid1(VALU_DEP_3)
	v_fmac_f32_e32 v64, 0xbf167918, v50
	v_fmac_f32_e32 v13, 0x3f167918, v50
	;; [unrolled: 1-line block ×4, first 2 shown]
	v_add_f32_e32 v52, v26, v14
	v_fmamk_f32 v50, v54, 0x3f737871, v53
	v_fmac_f32_e32 v53, 0xbf737871, v54
	v_dual_fmac_f32 v66, 0x3e9e377a, v18 :: v_dual_fmac_f32 v13, 0x3e9e377a, v51
	v_fmac_f32_e32 v72, 0x3e9e377a, v18
	v_add_f32_e32 v18, v46, v52
	v_sub_f32_e32 v52, v47, v49
	v_sub_f32_e32 v46, v46, v48
	v_fmac_f32_e32 v14, -0.5, v67
	v_sub_f32_e32 v67, v48, v19
	v_add_f32_e32 v18, v48, v18
	v_fmac_f32_e32 v64, 0x3e9e377a, v51
	v_fmac_f32_e32 v50, 0x3f167918, v52
	;; [unrolled: 1-line block ×3, first 2 shown]
	s_delay_alu instid0(VALU_DEP_4) | instskip(SKIP_1) | instid1(VALU_DEP_3)
	v_dual_add_f32 v51, v19, v18 :: v_dual_fmamk_f32 v18, v52, 0xbf737871, v14
	v_dual_fmac_f32 v14, 0x3f737871, v52 :: v_dual_sub_f32 v19, v26, v19
	v_dual_add_f32 v26, v67, v65 :: v_dual_fmac_f32 v53, 0x3e9e377a, v55
	s_delay_alu instid0(VALU_DEP_3) | instskip(NEXT) | instid1(VALU_DEP_3)
	v_fmac_f32_e32 v18, 0x3f167918, v54
	v_fmac_f32_e32 v14, 0xbf167918, v54
	v_add_f32_e32 v54, v27, v15
	s_delay_alu instid0(VALU_DEP_3) | instskip(NEXT) | instid1(VALU_DEP_3)
	v_fmac_f32_e32 v18, 0x3e9e377a, v26
	v_fmac_f32_e32 v14, 0x3e9e377a, v26
	s_delay_alu instid0(VALU_DEP_3) | instskip(SKIP_4) | instid1(VALU_DEP_3)
	v_add_f32_e32 v26, v47, v54
	v_fmac_f32_e32 v50, 0x3e9e377a, v55
	v_add_f32_e32 v55, v49, v47
	v_sub_f32_e32 v48, v27, v47
	v_sub_f32_e32 v54, v20, v49
	v_fma_f32 v52, -0.5, v55, v15
	v_add_f32_e32 v55, v20, v27
	v_sub_f32_e32 v27, v47, v27
	v_sub_f32_e32 v47, v49, v20
	s_delay_alu instid0(VALU_DEP_4) | instskip(NEXT) | instid1(VALU_DEP_4)
	v_fmamk_f32 v65, v19, 0xbf737871, v52
	v_fmac_f32_e32 v15, -0.5, v55
	v_fmac_f32_e32 v52, 0x3f737871, v19
	s_delay_alu instid0(VALU_DEP_4) | instskip(NEXT) | instid1(VALU_DEP_3)
	v_add_f32_e32 v27, v47, v27
	v_fmamk_f32 v55, v46, 0x3f737871, v15
	s_delay_alu instid0(VALU_DEP_1) | instskip(NEXT) | instid1(VALU_DEP_1)
	v_fmac_f32_e32 v55, 0xbf167918, v19
	v_fmac_f32_e32 v55, 0x3e9e377a, v27
	;; [unrolled: 1-line block ×4, first 2 shown]
	s_delay_alu instid0(VALU_DEP_2) | instskip(NEXT) | instid1(VALU_DEP_1)
	v_fmac_f32_e32 v15, 0x3f167918, v19
	v_fmac_f32_e32 v15, 0x3e9e377a, v27
	v_dual_mul_f32 v27, 0x3e9e377a, v18 :: v_dual_add_f32 v48, v54, v48
	s_delay_alu instid0(VALU_DEP_1) | instskip(SKIP_1) | instid1(VALU_DEP_1)
	v_fmac_f32_e32 v27, 0x3f737871, v55
	v_add_f32_e32 v19, v49, v26
	v_add_f32_e32 v67, v20, v19
	v_mul_f32_e32 v19, 0x3f4f1bbd, v53
	v_fmac_f32_e32 v65, 0x3e9e377a, v48
	v_mul_f32_e32 v75, 0xbf167918, v50
	v_mul_f32_e32 v26, 0x3f4f1bbd, v50
	;; [unrolled: 1-line block ×3, first 2 shown]
	s_delay_alu instid0(VALU_DEP_3) | instskip(SKIP_3) | instid1(VALU_DEP_2)
	v_fmac_f32_e32 v75, 0x3f4f1bbd, v65
	v_fmac_f32_e32 v52, 0x3f167918, v46
	v_mul_f32_e32 v46, 0x3e9e377a, v14
	v_fmac_f32_e32 v26, 0x3f167918, v65
	v_fma_f32 v73, 0x3f737871, v15, -v46
	v_dual_mul_f32 v15, 0x3e9e377a, v15 :: v_dual_add_f32 v46, v51, v21
	s_delay_alu instid0(VALU_DEP_2) | instskip(NEXT) | instid1(VALU_DEP_2)
	v_add_f32_e32 v49, v12, v73
	v_fma_f32 v65, 0xbf737871, v14, -v15
	v_dual_add_f32 v15, v66, v75 :: v_dual_fmac_f32 v52, 0x3e9e377a, v48
	v_add_f32_e32 v14, v67, v69
	s_delay_alu instid0(VALU_DEP_2) | instskip(NEXT) | instid1(VALU_DEP_1)
	v_mul_f32_e32 v18, 0x3f4f1bbd, v52
	v_fma_f32 v77, 0xbf167918, v53, -v18
	v_sub_f32_e32 v53, v21, v51
	v_fma_f32 v74, 0x3f167918, v52, -v19
	v_dual_add_f32 v21, v56, v62 :: v_dual_add_f32 v48, v70, v27
	s_delay_alu instid0(VALU_DEP_4) | instskip(NEXT) | instid1(VALU_DEP_3)
	v_dual_add_f32 v20, v72, v77 :: v_dual_add_f32 v47, v71, v26
	v_add_f32_e32 v52, v68, v74
	v_sub_f32_e32 v51, v68, v74
	s_delay_alu instid0(VALU_DEP_4)
	v_fma_f32 v68, -0.5, v21, v32
	v_sub_f32_e32 v21, v69, v67
	v_sub_f32_e32 v67, v63, v57
	v_dual_sub_f32 v50, v12, v73 :: v_dual_add_f32 v73, v58, v60
	v_dual_fmac_f32 v76, 0x3e9e377a, v55 :: v_dual_sub_f32 v69, v60, v62
	v_dual_sub_f32 v54, v71, v26 :: v_dual_sub_f32 v55, v70, v27
	v_add_f32_e32 v12, v60, v32
	v_dual_sub_f32 v70, v61, v59 :: v_dual_sub_f32 v71, v58, v56
	v_fmac_f32_e32 v32, -0.5, v73
	v_dual_add_f32 v18, v64, v76 :: v_dual_add_f32 v19, v13, v65
	v_sub_f32_e32 v27, v64, v76
	v_dual_add_f32 v73, v61, v33 :: v_dual_add_f32 v64, v62, v12
	v_sub_f32_e32 v12, v13, v65
	v_add_f32_e32 v65, v71, v69
	v_sub_f32_e32 v71, v62, v60
	v_sub_f32_e32 v13, v72, v77
	v_dual_fmamk_f32 v69, v67, 0xbf737871, v32 :: v_dual_sub_f32 v26, v66, v75
	v_fmamk_f32 v66, v70, 0x3f737871, v68
	v_fmac_f32_e32 v68, 0xbf737871, v70
	v_sub_f32_e32 v72, v56, v58
	s_delay_alu instid0(VALU_DEP_3) | instskip(NEXT) | instid1(VALU_DEP_3)
	v_dual_fmac_f32 v69, 0x3f167918, v70 :: v_dual_fmac_f32 v66, 0x3f167918, v67
	v_fmac_f32_e32 v68, 0xbf167918, v67
	s_delay_alu instid0(VALU_DEP_3) | instskip(SKIP_1) | instid1(VALU_DEP_4)
	v_add_f32_e32 v71, v72, v71
	v_add_f32_e32 v64, v56, v64
	v_fmac_f32_e32 v66, 0x3e9e377a, v65
	s_delay_alu instid0(VALU_DEP_3) | instskip(NEXT) | instid1(VALU_DEP_3)
	v_dual_fmac_f32 v68, 0x3e9e377a, v65 :: v_dual_fmac_f32 v69, 0x3e9e377a, v71
	v_dual_add_f32 v65, v59, v61 :: v_dual_add_f32 v64, v58, v64
	v_sub_f32_e32 v58, v60, v58
	v_add_f32_e32 v74, v57, v63
	v_sub_f32_e32 v56, v62, v56
	v_dual_sub_f32 v62, v61, v63 :: v_dual_sub_f32 v61, v63, v61
	v_dual_fmac_f32 v32, 0x3f737871, v67 :: v_dual_add_f32 v67, v63, v73
	s_delay_alu instid0(VALU_DEP_4) | instskip(SKIP_2) | instid1(VALU_DEP_3)
	v_fma_f32 v72, -0.5, v74, v33
	v_fmac_f32_e32 v33, -0.5, v65
	s_waitcnt vmcnt(1)
	v_dual_sub_f32 v63, v38, v44 :: v_dual_fmac_f32 v32, 0xbf167918, v70
	s_delay_alu instid0(VALU_DEP_3) | instskip(SKIP_2) | instid1(VALU_DEP_3)
	v_dual_add_f32 v60, v57, v67 :: v_dual_fmamk_f32 v67, v58, 0xbf737871, v72
	v_dual_sub_f32 v70, v59, v57 :: v_dual_add_f32 v65, v38, v42
	v_sub_f32_e32 v57, v57, v59
	v_fmac_f32_e32 v67, 0xbf167918, v56
	s_delay_alu instid0(VALU_DEP_2) | instskip(NEXT) | instid1(VALU_DEP_4)
	v_dual_add_f32 v57, v57, v61 :: v_dual_fmac_f32 v32, 0x3e9e377a, v71
	v_dual_add_f32 v71, v59, v60 :: v_dual_add_f32 v60, v70, v62
	v_fmamk_f32 v70, v56, 0x3f737871, v33
	v_add_f32_e32 v59, v44, v36
	v_fmac_f32_e32 v33, 0xbf737871, v56
	v_sub_f32_e32 v61, v43, v39
	v_fmac_f32_e32 v67, 0x3e9e377a, v60
	v_fmac_f32_e32 v72, 0x3f737871, v58
	v_fma_f32 v59, -0.5, v59, v34
	v_dual_fmac_f32 v33, 0x3f167918, v58 :: v_dual_sub_f32 v62, v42, v36
	s_delay_alu instid0(VALU_DEP_3) | instskip(SKIP_2) | instid1(VALU_DEP_4)
	v_fmac_f32_e32 v72, 0x3f167918, v56
	v_add_f32_e32 v56, v42, v34
	v_fmac_f32_e32 v34, -0.5, v65
	v_add_f32_e32 v62, v63, v62
	s_delay_alu instid0(VALU_DEP_4)
	v_dual_sub_f32 v63, v36, v42 :: v_dual_fmac_f32 v72, 0x3e9e377a, v60
	v_sub_f32_e32 v60, v37, v45
	v_fmac_f32_e32 v70, 0xbf167918, v58
	v_fmamk_f32 v58, v61, 0x3f737871, v59
	v_fmac_f32_e32 v59, 0xbf737871, v61
	v_fmac_f32_e32 v33, 0x3e9e377a, v57
	s_delay_alu instid0(VALU_DEP_3) | instskip(NEXT) | instid1(VALU_DEP_3)
	v_dual_sub_f32 v65, v44, v38 :: v_dual_fmac_f32 v58, 0x3f167918, v60
	v_fmac_f32_e32 v59, 0xbf167918, v60
	v_fmac_f32_e32 v70, 0x3e9e377a, v57
	s_delay_alu instid0(VALU_DEP_3) | instskip(NEXT) | instid1(VALU_DEP_3)
	v_fmac_f32_e32 v58, 0x3e9e377a, v62
	v_dual_fmac_f32 v59, 0x3e9e377a, v62 :: v_dual_add_f32 v62, v45, v37
	s_delay_alu instid0(VALU_DEP_1) | instskip(SKIP_2) | instid1(VALU_DEP_2)
	v_fma_f32 v62, -0.5, v62, v35
	v_add_f32_e32 v56, v36, v56
	v_sub_f32_e32 v36, v36, v44
	v_add_f32_e32 v56, v44, v56
	s_delay_alu instid0(VALU_DEP_1) | instskip(SKIP_1) | instid1(VALU_DEP_1)
	v_dual_sub_f32 v44, v43, v37 :: v_dual_add_f32 v57, v38, v56
	v_sub_f32_e32 v38, v42, v38
	v_dual_add_f32 v42, v65, v63 :: v_dual_fmamk_f32 v63, v38, 0xbf737871, v62
	s_delay_alu instid0(VALU_DEP_1) | instskip(SKIP_3) | instid1(VALU_DEP_3)
	v_fmac_f32_e32 v63, 0xbf167918, v36
	v_fmamk_f32 v56, v60, 0xbf737871, v34
	v_fmac_f32_e32 v34, 0x3f737871, v60
	v_add_f32_e32 v60, v43, v35
	v_fmac_f32_e32 v56, 0x3f167918, v61
	s_delay_alu instid0(VALU_DEP_3) | instskip(NEXT) | instid1(VALU_DEP_2)
	v_dual_fmac_f32 v34, 0xbf167918, v61 :: v_dual_add_f32 v61, v39, v43
	v_fmac_f32_e32 v56, 0x3e9e377a, v42
	s_delay_alu instid0(VALU_DEP_2) | instskip(SKIP_3) | instid1(VALU_DEP_4)
	v_dual_fmac_f32 v34, 0x3e9e377a, v42 :: v_dual_fmac_f32 v35, -0.5, v61
	v_add_f32_e32 v42, v37, v60
	v_sub_f32_e32 v37, v37, v43
	v_dual_sub_f32 v43, v45, v39 :: v_dual_sub_f32 v60, v39, v45
	v_fmamk_f32 v65, v36, 0x3f737871, v35
	v_fmac_f32_e32 v35, 0xbf737871, v36
	s_delay_alu instid0(VALU_DEP_3) | instskip(NEXT) | instid1(VALU_DEP_3)
	v_add_f32_e32 v37, v43, v37
	v_fmac_f32_e32 v65, 0xbf167918, v38
	s_delay_alu instid0(VALU_DEP_1) | instskip(SKIP_4) | instid1(VALU_DEP_2)
	v_fmac_f32_e32 v65, 0x3e9e377a, v37
	v_fmac_f32_e32 v62, 0x3f737871, v38
	v_fmac_f32_e32 v35, 0x3f167918, v38
	v_add_f32_e32 v38, v45, v42
	v_mul_f32_e32 v42, 0x3f4f1bbd, v59
	v_dual_fmac_f32 v35, 0x3e9e377a, v37 :: v_dual_add_f32 v38, v39, v38
	v_add_f32_e32 v44, v60, v44
	s_delay_alu instid0(VALU_DEP_1) | instskip(SKIP_2) | instid1(VALU_DEP_2)
	v_fmac_f32_e32 v63, 0x3e9e377a, v44
	v_mul_f32_e32 v73, 0x3f4f1bbd, v58
	v_mul_f32_e32 v58, 0xbf167918, v58
	v_fmac_f32_e32 v73, 0x3f167918, v63
	s_delay_alu instid0(VALU_DEP_2) | instskip(NEXT) | instid1(VALU_DEP_2)
	v_dual_fmac_f32 v58, 0x3f4f1bbd, v63 :: v_dual_sub_f32 v63, v64, v57
	v_dual_mul_f32 v76, 0xbf737871, v56 :: v_dual_add_f32 v37, v66, v73
	s_delay_alu instid0(VALU_DEP_2) | instskip(SKIP_4) | instid1(VALU_DEP_3)
	v_add_f32_e32 v43, v67, v58
	v_dual_sub_f32 v58, v67, v58 :: v_dual_sub_f32 v67, v25, v29
	v_fmac_f32_e32 v62, 0x3f167918, v36
	v_mul_f32_e32 v36, 0x3e9e377a, v34
	v_fmac_f32_e32 v76, 0x3e9e377a, v65
	v_fmac_f32_e32 v62, 0x3e9e377a, v44
	s_delay_alu instid0(VALU_DEP_3) | instskip(SKIP_1) | instid1(VALU_DEP_4)
	v_fma_f32 v39, 0x3f737871, v35, -v36
	v_dual_add_f32 v36, v57, v64 :: v_dual_mul_f32 v35, 0x3e9e377a, v35
	v_add_f32_e32 v44, v70, v76
	s_delay_alu instid0(VALU_DEP_4) | instskip(NEXT) | instid1(VALU_DEP_4)
	v_fma_f32 v75, 0x3f167918, v62, -v42
	v_dual_mul_f32 v42, 0x3f4f1bbd, v62 :: v_dual_add_f32 v61, v32, v39
	v_add_f32_e32 v57, v28, v24
	v_dual_sub_f32 v64, v32, v39 :: v_dual_sub_f32 v39, v22, v24
	s_delay_alu instid0(VALU_DEP_3)
	v_fma_f32 v78, 0xbf167918, v59, -v42
	v_sub_f32_e32 v59, v70, v76
	v_sub_f32_e32 v70, v30, v28
	v_mul_f32_e32 v74, 0x3e9e377a, v56
	v_fma_f32 v77, 0xbf737871, v34, -v35
	v_sub_f32_e32 v34, v66, v73
	v_sub_f32_e32 v66, v23, v31
	v_add_f32_e32 v62, v68, v75
	v_dual_fmac_f32 v74, 0x3f737871, v65 :: v_dual_sub_f32 v65, v68, v75
	v_fma_f32 v68, -0.5, v57, v0
	v_dual_add_f32 v32, v22, v0 :: v_dual_add_f32 v45, v33, v77
	s_delay_alu instid0(VALU_DEP_3) | instskip(SKIP_1) | instid1(VALU_DEP_4)
	v_add_f32_e32 v60, v69, v74
	v_sub_f32_e32 v35, v69, v74
	v_fmamk_f32 v69, v66, 0x3f737871, v68
	v_fmac_f32_e32 v68, 0xbf737871, v66
	v_add_f32_e32 v74, v29, v25
	v_add_f32_e32 v56, v72, v78
	s_delay_alu instid0(VALU_DEP_4) | instskip(SKIP_4) | instid1(VALU_DEP_3)
	v_dual_add_f32 v32, v24, v32 :: v_dual_fmac_f32 v69, 0x3f167918, v67
	v_dual_add_f32 v42, v38, v71 :: v_dual_sub_f32 v57, v71, v38
	v_dual_add_f32 v71, v30, v22 :: v_dual_sub_f32 v38, v33, v77
	;; [unrolled: 1-line block ×3, first 2 shown]
	v_fmac_f32_e32 v68, 0xbf167918, v67
	v_fmac_f32_e32 v0, -0.5, v71
	v_fma_f32 v74, -0.5, v74, v1
	v_sub_f32_e32 v22, v22, v30
	v_sub_f32_e32 v39, v72, v78
	v_fmac_f32_e32 v69, 0x3e9e377a, v33
	v_fmamk_f32 v73, v67, 0xbf737871, v0
	v_fmac_f32_e32 v0, 0x3f737871, v67
	v_add_f32_e32 v72, v23, v1
	v_fmac_f32_e32 v68, 0x3e9e377a, v33
	v_fmamk_f32 v33, v22, 0xbf737871, v74
	v_fmac_f32_e32 v73, 0x3f167918, v66
	v_fmac_f32_e32 v0, 0xbf167918, v66
	v_add_f32_e32 v66, v31, v23
	v_sub_f32_e32 v24, v24, v28
	v_fmac_f32_e32 v74, 0x3f737871, v22
	v_add_f32_e32 v32, v28, v32
	v_add_f32_e32 v67, v25, v72
	v_fmac_f32_e32 v1, -0.5, v66
	v_fmac_f32_e32 v33, 0xbf167918, v24
	v_fmac_f32_e32 v74, 0x3f167918, v24
	v_dual_add_f32 v32, v30, v32 :: v_dual_sub_f32 v71, v28, v30
	s_delay_alu instid0(VALU_DEP_4)
	v_fmamk_f32 v75, v24, 0x3f737871, v1
	v_dual_fmac_f32 v1, 0xbf737871, v24 :: v_dual_add_f32 v24, v6, v2
	v_add_f32_e32 v30, v29, v67
	v_sub_f32_e32 v28, v23, v25
	v_sub_f32_e32 v67, v31, v29
	;; [unrolled: 1-line block ×4, first 2 shown]
	v_add_f32_e32 v29, v8, v10
	v_fmac_f32_e32 v75, 0xbf167918, v22
	v_dual_fmac_f32 v1, 0x3f167918, v22 :: v_dual_add_f32 v22, v10, v24
	s_delay_alu instid0(VALU_DEP_4) | instskip(NEXT) | instid1(VALU_DEP_4)
	v_dual_add_f32 v28, v67, v28 :: v_dual_add_f32 v23, v25, v23
	v_fma_f32 v25, -0.5, v29, v2
	s_waitcnt vmcnt(0)
	v_sub_f32_e32 v29, v7, v5
	v_add_f32_e32 v67, v4, v6
	v_dual_add_f32 v22, v8, v22 :: v_dual_fmac_f32 v33, 0x3e9e377a, v28
	v_fmac_f32_e32 v74, 0x3e9e377a, v28
	s_delay_alu instid0(VALU_DEP_4)
	v_fmamk_f32 v24, v29, 0x3f737871, v25
	v_dual_sub_f32 v66, v4, v8 :: v_dual_fmac_f32 v25, 0xbf737871, v29
	v_fmac_f32_e32 v2, -0.5, v67
	v_add_f32_e32 v22, v4, v22
	v_sub_f32_e32 v67, v8, v4
	v_sub_f32_e32 v4, v6, v4
	v_dual_sub_f32 v28, v11, v9 :: v_dual_fmac_f32 v75, 0x3e9e377a, v23
	v_fmac_f32_e32 v1, 0x3e9e377a, v23
	s_delay_alu instid0(VALU_DEP_2) | instskip(SKIP_3) | instid1(VALU_DEP_4)
	v_dual_fmac_f32 v25, 0xbf167918, v28 :: v_dual_add_f32 v70, v71, v70
	v_fmamk_f32 v23, v28, 0xbf737871, v2
	v_fmac_f32_e32 v24, 0x3f167918, v28
	v_fmac_f32_e32 v2, 0x3f737871, v28
	;; [unrolled: 1-line block ×3, first 2 shown]
	s_delay_alu instid0(VALU_DEP_4) | instskip(NEXT) | instid1(VALU_DEP_3)
	v_dual_fmac_f32 v23, 0x3f167918, v29 :: v_dual_add_f32 v30, v31, v30
	v_dual_sub_f32 v31, v6, v10 :: v_dual_fmac_f32 v2, 0xbf167918, v29
	v_dual_add_f32 v29, v7, v3 :: v_dual_sub_f32 v8, v10, v8
	s_delay_alu instid0(VALU_DEP_2) | instskip(SKIP_2) | instid1(VALU_DEP_3)
	v_add_f32_e32 v31, v66, v31
	v_sub_f32_e32 v66, v10, v6
	v_sub_f32_e32 v10, v7, v11
	v_fmac_f32_e32 v24, 0x3e9e377a, v31
	v_fmac_f32_e32 v25, 0x3e9e377a, v31
	s_delay_alu instid0(VALU_DEP_4) | instskip(NEXT) | instid1(VALU_DEP_1)
	v_dual_add_f32 v31, v9, v11 :: v_dual_add_f32 v6, v67, v66
	v_fma_f32 v28, -0.5, v31, v3
	v_dual_add_f32 v31, v5, v7 :: v_dual_fmac_f32 v0, 0x3e9e377a, v70
	v_sub_f32_e32 v7, v11, v7
	s_delay_alu instid0(VALU_DEP_4) | instskip(NEXT) | instid1(VALU_DEP_3)
	v_fmac_f32_e32 v23, 0x3e9e377a, v6
	v_dual_fmac_f32 v2, 0x3e9e377a, v6 :: v_dual_fmac_f32 v3, -0.5, v31
	v_add_f32_e32 v6, v11, v29
	v_sub_f32_e32 v11, v9, v5
	v_sub_f32_e32 v29, v5, v9
	s_delay_alu instid0(VALU_DEP_4) | instskip(SKIP_1) | instid1(VALU_DEP_3)
	v_fmamk_f32 v31, v8, 0x3f737871, v3
	v_fmac_f32_e32 v3, 0xbf737871, v8
	v_dual_add_f32 v7, v11, v7 :: v_dual_add_f32 v10, v29, v10
	v_mul_f32_e32 v29, 0x3e9e377a, v23
	s_delay_alu instid0(VALU_DEP_4) | instskip(SKIP_1) | instid1(VALU_DEP_2)
	v_fmac_f32_e32 v31, 0xbf167918, v4
	v_mul_f32_e32 v23, 0xbf737871, v23
	v_fmac_f32_e32 v31, 0x3e9e377a, v7
	s_delay_alu instid0(VALU_DEP_1) | instskip(NEXT) | instid1(VALU_DEP_3)
	v_fmac_f32_e32 v29, 0x3f737871, v31
	v_fmac_f32_e32 v23, 0x3e9e377a, v31
	v_fmamk_f32 v66, v4, 0xbf737871, v28
	v_fmac_f32_e32 v28, 0x3f737871, v4
	v_dual_fmac_f32 v3, 0x3f167918, v4 :: v_dual_add_f32 v4, v9, v6
	v_mul_f32_e32 v6, 0x3e9e377a, v2
	s_delay_alu instid0(VALU_DEP_4) | instskip(NEXT) | instid1(VALU_DEP_4)
	v_fmac_f32_e32 v66, 0xbf167918, v8
	v_fmac_f32_e32 v28, 0x3f167918, v8
	v_mul_f32_e32 v8, 0x3f4f1bbd, v25
	v_add_f32_e32 v76, v5, v4
	v_dual_add_f32 v4, v22, v32 :: v_dual_fmac_f32 v3, 0x3e9e377a, v7
	s_delay_alu instid0(VALU_DEP_4) | instskip(NEXT) | instid1(VALU_DEP_1)
	v_fmac_f32_e32 v28, 0x3e9e377a, v10
	v_dual_add_f32 v70, v75, v23 :: v_dual_mul_f32 v9, 0x3f4f1bbd, v28
	v_fma_f32 v77, 0x3f167918, v28, -v8
	s_delay_alu instid0(VALU_DEP_2) | instskip(SKIP_2) | instid1(VALU_DEP_3)
	v_fma_f32 v25, 0xbf167918, v25, -v9
	v_sub_f32_e32 v9, v32, v22
	v_mul_u32_u24_e32 v22, 10, v106
	v_sub_f32_e32 v79, v74, v25
	s_delay_alu instid0(VALU_DEP_2)
	v_lshl_add_u32 v80, v22, 2, 0
	ds_store_2addr_b64 v80, v[46:47], v[48:49] offset1:1
	ds_store_2addr_b64 v80, v[52:53], v[54:55] offset0:2 offset1:3
	v_and_b32_e32 v53, 0xff, v106
	v_add_nc_u32_e32 v81, 0xfb0, v80
	v_fmac_f32_e32 v66, 0x3e9e377a, v10
	v_fma_f32 v10, 0x3f737871, v3, -v6
	v_mul_f32_e32 v3, 0x3e9e377a, v3
	v_add_nc_u32_e32 v55, 0x1f40, v80
	v_mad_i32_i24 v86, 0xffffffdc, v106, v80
	s_delay_alu instid0(VALU_DEP_4) | instskip(NEXT) | instid1(VALU_DEP_4)
	v_dual_add_f32 v6, v73, v29 :: v_dual_add_f32 v7, v0, v10
	v_fma_f32 v28, 0xbf737871, v2, -v3
	v_add_f32_e32 v8, v68, v77
	v_dual_sub_f32 v3, v73, v29 :: v_dual_add_nc_u32 v82, 0x1f50, v80
	s_delay_alu instid0(VALU_DEP_3)
	v_dual_sub_f32 v10, v0, v10 :: v_dual_add_f32 v71, v1, v28
	v_mul_f32_e32 v11, 0x3f4f1bbd, v24
	v_add_nc_u32_e32 v87, 0x1200, v86
	v_add_nc_u32_e32 v91, 0x400, v86
	;; [unrolled: 1-line block ×3, first 2 shown]
	v_mul_f32_e32 v24, 0xbf167918, v24
	v_dual_fmac_f32 v11, 0x3f167918, v66 :: v_dual_add_f32 v72, v74, v25
	v_add_nc_u32_e32 v93, 0xe00, v86
	v_add_nc_u32_e32 v74, 0x200, v86
	s_delay_alu instid0(VALU_DEP_3)
	v_dual_fmac_f32 v24, 0x3f4f1bbd, v66 :: v_dual_add_f32 v5, v69, v11
	v_dual_sub_f32 v2, v69, v11 :: v_dual_sub_f32 v11, v68, v77
	v_sub_f32_e32 v77, v75, v23
	v_add_nc_u32_e32 v75, 0xfa0, v80
	ds_store_2addr_b64 v75, v[36:37], v[60:61] offset1:1
	ds_store_2addr_b64 v81, v[62:63], v[34:35] offset1:1
	;; [unrolled: 1-line block ×4, first 2 shown]
	ds_store_b64 v80, v[50:51] offset:32
	ds_store_b64 v80, v[64:65] offset:4032
	;; [unrolled: 1-line block ×3, first 2 shown]
	v_mul_lo_u16 v4, 0xcd, v53
	v_add_nc_u32_e32 v64, 0x1e00, v86
	v_add_nc_u32_e32 v65, 0x1400, v86
	v_dual_add_f32 v67, v33, v24 :: v_dual_add_nc_u32 v90, 0x2000, v86
	s_delay_alu instid0(VALU_DEP_4)
	v_lshrrev_b16 v54, 11, v4
	v_sub_f32_e32 v73, v30, v76
	v_sub_f32_e32 v78, v1, v28
	s_waitcnt lgkmcnt(0)
	s_barrier
	v_mul_lo_u16 v51, v54, 10
	buffer_gl0_inv
	v_add_nc_u32_e32 v68, 0x2800, v86
	v_add_nc_u32_e32 v69, 0xc00, v86
	v_add_nc_u16 v50, v106, 0x64
	v_sub_nc_u16 v51, v106, v51
	v_add_f32_e32 v66, v76, v30
	v_dual_sub_f32 v76, v33, v24 :: v_dual_add_nc_u32 v95, 0x2a00, v86
	ds_load_2addr_b32 v[8:9], v86 offset1:100
	ds_load_2addr_b32 v[30:31], v93 offset0:104 offset1:204
	ds_load_2addr_b32 v[32:33], v64 offset0:80 offset1:180
	;; [unrolled: 1-line block ×7, first 2 shown]
	v_add_nc_u32_e32 v96, 0x2400, v86
	v_add_nc_u32_e32 v92, 0x800, v86
	;; [unrolled: 1-line block ×3, first 2 shown]
	ds_load_2addr_b32 v[46:47], v96 offset0:96 offset1:196
	ds_load_2addr_b32 v[0:1], v92 offset0:88 offset1:188
	;; [unrolled: 1-line block ×7, first 2 shown]
	v_and_b32_e32 v52, 0xff, v50
	s_waitcnt lgkmcnt(0)
	s_barrier
	buffer_gl0_inv
	ds_store_2addr_b64 v80, v[14:15], v[18:19] offset1:1
	ds_store_2addr_b64 v80, v[20:21], v[26:27] offset0:2 offset1:3
	v_and_b32_e32 v15, 0xff, v51
	v_mul_lo_u16 v60, 0xcd, v52
	ds_store_2addr_b64 v75, v[42:43], v[44:45] offset1:1
	ds_store_2addr_b64 v81, v[56:57], v[58:59] offset1:1
	v_add_nc_u32_e32 v75, 0xc8, v106
	ds_store_2addr_b64 v55, v[66:67], v[70:71] offset1:1
	ds_store_2addr_b64 v82, v[72:73], v[76:77] offset1:1
	v_lshlrev_b32_e32 v20, 4, v15
	v_lshrrev_b16 v14, 11, v60
	ds_store_b64 v80, v[12:13] offset:32
	ds_store_b64 v80, v[38:39] offset:4032
	ds_store_b64 v80, v[78:79] offset:8032
	s_waitcnt lgkmcnt(0)
	s_barrier
	buffer_gl0_inv
	global_load_b128 v[42:45], v20, s[8:9]
	v_add_nc_u32_e32 v19, 0x12c, v106
	v_mul_lo_u16 v18, v14, 10
	v_and_b32_e32 v51, 0xffff, v75
	v_add_nc_u32_e32 v39, 0x1f4, v106
	v_add_nc_u32_e32 v70, 0x2bc, v106
	v_and_b32_e32 v21, 0xffff, v19
	v_sub_nc_u16 v12, v50, v18
	v_mul_u32_u24_e32 v13, 0xcccd, v51
	v_lshlrev_b32_e32 v15, 2, v15
	s_delay_alu instid0(VALU_DEP_4) | instskip(NEXT) | instid1(VALU_DEP_4)
	v_mul_u32_u24_e32 v21, 0xcccd, v21
	v_and_b32_e32 v18, 0xff, v12
	s_delay_alu instid0(VALU_DEP_4) | instskip(NEXT) | instid1(VALU_DEP_3)
	v_lshrrev_b32_e32 v13, 19, v13
	v_lshrrev_b32_e32 v12, 19, v21
	s_delay_alu instid0(VALU_DEP_3) | instskip(NEXT) | instid1(VALU_DEP_3)
	v_lshlrev_b32_e32 v21, 4, v18
	v_mul_lo_u16 v26, v13, 10
	s_delay_alu instid0(VALU_DEP_3) | instskip(SKIP_4) | instid1(VALU_DEP_3)
	v_mul_lo_u16 v38, v12, 10
	global_load_b128 v[55:58], v21, s[8:9]
	v_add_nc_u32_e32 v27, 0x190, v106
	v_sub_nc_u16 v26, v75, v26
	v_and_b32_e32 v59, 0xffff, v39
	v_and_b32_e32 v20, 0xffff, v27
	s_delay_alu instid0(VALU_DEP_3) | instskip(NEXT) | instid1(VALU_DEP_3)
	v_and_b32_e32 v21, 0xffff, v26
	v_mul_u32_u24_e32 v26, 0xcccd, v59
	s_delay_alu instid0(VALU_DEP_1) | instskip(SKIP_4) | instid1(VALU_DEP_2)
	v_lshrrev_b32_e32 v26, 19, v26
	s_waitcnt vmcnt(1)
	v_mul_f32_e32 v138, v30, v43
	v_sub_nc_u16 v19, v19, v38
	v_mul_u32_u24_e32 v38, 0xcccd, v20
	v_dual_mul_f32 v139, v32, v45 :: v_dual_and_b32 v20, 0xffff, v19
	s_delay_alu instid0(VALU_DEP_2) | instskip(SKIP_1) | instid1(VALU_DEP_3)
	v_lshrrev_b32_e32 v19, 19, v38
	v_lshlrev_b32_e32 v38, 4, v21
	v_lshlrev_b32_e32 v66, 4, v20
	s_delay_alu instid0(VALU_DEP_3)
	v_mul_lo_u16 v67, v19, 10
	s_clause 0x1
	global_load_b128 v[59:62], v38, s[8:9]
	global_load_b128 v[108:111], v66, s[8:9]
	v_sub_nc_u16 v27, v27, v67
	v_mul_lo_u16 v66, v26, 10
	v_add_nc_u32_e32 v71, 0x320, v106
	s_delay_alu instid0(VALU_DEP_3) | instskip(NEXT) | instid1(VALU_DEP_3)
	v_and_b32_e32 v102, 0xffff, v27
	v_sub_nc_u16 v27, v39, v66
	s_waitcnt vmcnt(2)
	v_mul_f32_e32 v80, v33, v58
	v_add_nc_u32_e32 v63, 0x258, v106
	v_and_b32_e32 v66, 0xffff, v71
	v_lshlrev_b32_e32 v39, 4, v102
	v_dual_mul_f32 v79, v31, v56 :: v_dual_and_b32 v136, 0xffff, v27
	global_load_b128 v[112:115], v39, s[8:9]
	v_and_b32_e32 v38, 0xffff, v63
	v_and_b32_e32 v67, 0xffff, v70
	v_add_nc_u32_e32 v39, 0x384, v106
	s_delay_alu instid0(VALU_DEP_3) | instskip(NEXT) | instid1(VALU_DEP_1)
	v_mul_u32_u24_e32 v38, 0xcccd, v38
	v_lshrrev_b32_e32 v105, 19, v38
	s_delay_alu instid0(VALU_DEP_4) | instskip(NEXT) | instid1(VALU_DEP_2)
	v_mul_u32_u24_e32 v38, 0xcccd, v67
	v_mul_lo_u16 v67, v105, 10
	s_delay_alu instid0(VALU_DEP_2) | instskip(SKIP_2) | instid1(VALU_DEP_4)
	v_lshrrev_b32_e32 v27, 19, v38
	v_mul_u32_u24_e32 v38, 0xcccd, v66
	v_lshlrev_b32_e32 v66, 4, v136
	v_sub_nc_u16 v63, v63, v67
	s_delay_alu instid0(VALU_DEP_4) | instskip(NEXT) | instid1(VALU_DEP_4)
	v_mul_lo_u16 v67, v27, 10
	v_lshrrev_b32_e32 v99, 19, v38
	v_and_b32_e32 v38, 0xffff, v39
	global_load_b128 v[116:119], v66, s[8:9]
	v_and_b32_e32 v137, 0xffff, v63
	v_sub_nc_u16 v63, v70, v67
	v_mul_u32_u24_e32 v38, 0xcccd, v38
	s_delay_alu instid0(VALU_DEP_3) | instskip(NEXT) | instid1(VALU_DEP_3)
	v_lshlrev_b32_e32 v67, 4, v137
	v_and_b32_e32 v103, 0xffff, v63
	s_delay_alu instid0(VALU_DEP_3) | instskip(SKIP_4) | instid1(VALU_DEP_1)
	v_lshrrev_b32_e32 v100, 19, v38
	global_load_b128 v[120:123], v67, s[8:9]
	v_lshlrev_b32_e32 v38, 4, v103
	global_load_b128 v[124:127], v38, s[8:9]
	v_mul_lo_u16 v66, v99, 10
	v_sub_nc_u16 v63, v71, v66
	v_mul_lo_u16 v66, v100, 10
	s_delay_alu instid0(VALU_DEP_2) | instskip(NEXT) | instid1(VALU_DEP_2)
	v_and_b32_e32 v104, 0xffff, v63
	v_sub_nc_u16 v38, v39, v66
	s_delay_alu instid0(VALU_DEP_2) | instskip(NEXT) | instid1(VALU_DEP_2)
	v_lshlrev_b32_e32 v39, 4, v104
	v_and_b32_e32 v101, 0xffff, v38
	global_load_b128 v[128:131], v39, s[8:9]
	v_lshlrev_b32_e32 v38, 4, v101
	global_load_b128 v[132:135], v38, s[8:9]
	ds_load_2addr_b32 v[38:39], v93 offset0:104 offset1:204
	ds_load_2addr_b32 v[66:67], v64 offset0:80 offset1:180
	;; [unrolled: 1-line block ×3, first 2 shown]
	s_waitcnt lgkmcnt(2)
	v_mul_f32_e32 v63, v38, v43
	s_waitcnt lgkmcnt(1)
	v_mul_f32_e32 v43, v66, v45
	v_fmac_f32_e32 v138, v38, v42
	v_fmac_f32_e32 v80, v67, v57
	;; [unrolled: 1-line block ×3, first 2 shown]
	v_fma_f32 v140, v30, v42, -v63
	v_mul_f32_e32 v30, v39, v56
	v_fma_f32 v141, v32, v44, -v43
	v_dual_mul_f32 v32, v67, v58 :: v_dual_fmac_f32 v139, v66, v44
	s_delay_alu instid0(VALU_DEP_3)
	v_fma_f32 v83, v31, v55, -v30
	ds_load_2addr_b32 v[30:31], v65 offset0:120 offset1:220
	v_fma_f32 v97, v33, v57, -v32
	s_waitcnt vmcnt(7) lgkmcnt(1)
	v_mul_f32_e32 v38, v70, v60
	v_mul_f32_e32 v60, v28, v60
	s_waitcnt vmcnt(6)
	v_dual_mul_f32 v56, v24, v62 :: v_dual_mul_f32 v63, v29, v109
	s_delay_alu instid0(VALU_DEP_3) | instskip(SKIP_1) | instid1(VALU_DEP_3)
	v_fma_f32 v72, v28, v59, -v38
	v_mul_f32_e32 v28, v71, v109
	v_dual_fmac_f32 v60, v70, v59 :: v_dual_fmac_f32 v63, v71, v108
	ds_load_2addr_b32 v[76:77], v90 offset0:152 offset1:252
	v_fma_f32 v73, v29, v108, -v28
	s_waitcnt vmcnt(5)
	v_mul_f32_e32 v57, v48, v113
	ds_load_2addr_b32 v[32:33], v96 offset0:96 offset1:196
	v_mul_f32_e32 v55, v46, v115
	ds_load_2addr_b32 v[28:29], v94 offset0:64 offset1:164
	s_waitcnt lgkmcnt(3)
	v_fmac_f32_e32 v57, v30, v112
	s_waitcnt lgkmcnt(2)
	v_dual_mul_f32 v39, v76, v62 :: v_dual_mul_f32 v38, v77, v111
	v_fmac_f32_e32 v56, v76, v61
	v_mul_f32_e32 v76, v25, v111
	s_delay_alu instid0(VALU_DEP_3) | instskip(NEXT) | instid1(VALU_DEP_4)
	v_fma_f32 v89, v24, v61, -v39
	v_fma_f32 v82, v25, v110, -v38
	ds_load_2addr_b32 v[24:25], v68 offset0:40 offset1:140
	v_mul_f32_e32 v38, v30, v113
	s_waitcnt lgkmcnt(2)
	v_dual_fmac_f32 v76, v77, v110 :: v_dual_mul_f32 v39, v32, v115
	v_fmac_f32_e32 v55, v32, v114
	s_delay_alu instid0(VALU_DEP_3)
	v_fma_f32 v61, v48, v112, -v38
	v_lshlrev_b32_e32 v18, 2, v18
	s_waitcnt vmcnt(4)
	v_mul_f32_e32 v32, v33, v119
	v_mul_f32_e32 v59, v47, v119
	v_fma_f32 v67, v46, v114, -v39
	v_mul_f32_e32 v30, v31, v117
	v_mul_f32_e32 v58, v49, v117
	v_fma_f32 v81, v47, v118, -v32
	ds_load_2addr_b32 v[38:39], v107 offset0:8 offset1:108
	v_fmac_f32_e32 v59, v33, v118
	v_fma_f32 v66, v49, v116, -v30
	v_fmac_f32_e32 v58, v31, v116
	ds_load_2addr_b32 v[30:31], v95 offset0:112 offset1:212
	s_waitcnt vmcnt(3)
	v_mul_f32_e32 v78, v34, v121
	v_mul_f32_e32 v48, v36, v123
	s_waitcnt lgkmcnt(2)
	v_mul_f32_e32 v33, v24, v123
	s_waitcnt vmcnt(2)
	v_dual_fmac_f32 v78, v28, v120 :: v_dual_mul_f32 v71, v35, v125
	v_dual_mul_f32 v47, v37, v127 :: v_dual_fmac_f32 v48, v24, v122
	v_mul_f32_e32 v24, v25, v127
	v_fma_f32 v84, v36, v122, -v33
	s_delay_alu instid0(VALU_DEP_4) | instskip(NEXT) | instid1(VALU_DEP_4)
	v_fmac_f32_e32 v71, v29, v124
	v_fmac_f32_e32 v47, v25, v126
	v_and_b32_e32 v14, 0xffff, v14
	v_mul_f32_e32 v32, v28, v121
	v_fma_f32 v85, v37, v126, -v24
	s_delay_alu instid0(VALU_DEP_3) | instskip(NEXT) | instid1(VALU_DEP_1)
	v_mul_u32_u24_e32 v14, 0x78, v14
	v_add3_u32 v112, 0, v14, v18
	v_add_f32_e32 v18, v72, v89
	v_add_f32_e32 v14, v6, v72
	v_sub_f32_e32 v72, v72, v89
	s_waitcnt vmcnt(1)
	v_mul_f32_e32 v49, v22, v129
	v_mul_f32_e32 v62, v10, v131
	v_fma_f32 v6, -0.5, v18, v6
	v_add_f32_e32 v18, v2, v61
	s_waitcnt lgkmcnt(1)
	v_dual_mul_f32 v28, v29, v125 :: v_dual_fmac_f32 v49, v38, v128
	s_waitcnt vmcnt(0)
	v_mul_f32_e32 v24, v39, v133
	v_mul_f32_e32 v88, v23, v133
	;; [unrolled: 1-line block ×3, first 2 shown]
	v_fma_f32 v70, v35, v124, -v28
	v_mul_f32_e32 v28, v38, v129
	s_delay_alu instid0(VALU_DEP_4)
	v_fmac_f32_e32 v88, v39, v132
	ds_load_2addr_b32 v[108:109], v86 offset1:100
	ds_load_2addr_b32 v[44:45], v74 offset0:72 offset1:172
	ds_load_2addr_b32 v[42:43], v91 offset0:144 offset1:244
	;; [unrolled: 1-line block ×4, first 2 shown]
	s_waitcnt lgkmcnt(0)
	v_fma_f32 v46, v22, v128, -v28
	v_mul_f32_e32 v22, v30, v131
	s_barrier
	buffer_gl0_inv
	v_fma_f32 v98, v10, v130, -v22
	v_and_b32_e32 v10, 0xffff, v54
	v_fma_f32 v54, v23, v132, -v24
	v_dual_mul_f32 v22, v31, v135 :: v_dual_add_f32 v23, v8, v140
	v_add_f32_e32 v24, v140, v141
	s_delay_alu instid0(VALU_DEP_4) | instskip(NEXT) | instid1(VALU_DEP_3)
	v_mul_u32_u24_e32 v10, 0x78, v10
	v_fma_f32 v111, v11, v134, -v22
	v_sub_f32_e32 v11, v138, v139
	s_delay_alu instid0(VALU_DEP_4) | instskip(NEXT) | instid1(VALU_DEP_4)
	v_fma_f32 v8, -0.5, v24, v8
	v_add3_u32 v15, 0, v10, v15
	v_add_f32_e32 v10, v23, v141
	v_add_f32_e32 v23, v83, v97
	s_delay_alu instid0(VALU_DEP_4) | instskip(SKIP_2) | instid1(VALU_DEP_4)
	v_fmamk_f32 v22, v11, 0x3f5db3d7, v8
	v_fmac_f32_e32 v8, 0xbf5db3d7, v11
	v_add_f32_e32 v11, v9, v83
	v_fmac_f32_e32 v9, -0.5, v23
	v_sub_f32_e32 v23, v79, v80
	ds_store_2addr_b32 v15, v10, v22 offset1:10
	ds_store_b32 v15, v8 offset:80
	v_add_f32_e32 v8, v11, v97
	v_mul_u32_u24_e32 v11, 0x78, v13
	v_fmamk_f32 v10, v23, 0x3f5db3d7, v9
	v_fmac_f32_e32 v9, 0xbf5db3d7, v23
	v_lshlrev_b32_e32 v13, 2, v21
	ds_store_2addr_b32 v112, v8, v10 offset1:10
	ds_store_b32 v112, v9 offset:80
	v_add_f32_e32 v10, v73, v82
	v_add3_u32 v113, 0, v11, v13
	v_mul_u32_u24_e32 v11, 0x78, v12
	v_lshlrev_b32_e32 v12, 2, v20
	v_sub_f32_e32 v9, v60, v56
	v_add_f32_e32 v13, v7, v73
	v_dual_fmac_f32 v7, -0.5, v10 :: v_dual_add_f32 v10, v61, v67
	s_delay_alu instid0(VALU_DEP_4)
	v_add3_u32 v114, 0, v11, v12
	v_dual_sub_f32 v11, v63, v76 :: v_dual_add_f32 v8, v14, v89
	v_fmamk_f32 v14, v9, 0x3f5db3d7, v6
	v_dual_fmac_f32 v6, 0xbf5db3d7, v9 :: v_dual_add_f32 v9, v13, v82
	v_mul_u32_u24_e32 v12, 0x78, v19
	v_lshlrev_b32_e32 v13, 2, v102
	v_fma_f32 v2, -0.5, v10, v2
	v_dual_sub_f32 v10, v57, v55 :: v_dual_fmamk_f32 v19, v11, 0x3f5db3d7, v7
	v_fmac_f32_e32 v7, 0xbf5db3d7, v11
	s_delay_alu instid0(VALU_DEP_4) | instskip(SKIP_1) | instid1(VALU_DEP_4)
	v_add3_u32 v102, 0, v12, v13
	v_add_f32_e32 v11, v18, v67
	v_fmamk_f32 v12, v10, 0x3f5db3d7, v2
	v_fma_f32 v77, v34, v120, -v32
	ds_store_2addr_b32 v113, v8, v14 offset1:10
	ds_store_b32 v113, v6 offset:80
	ds_store_2addr_b32 v114, v9, v19 offset1:10
	ds_store_b32 v114, v7 offset:80
	ds_store_2addr_b32 v102, v11, v12 offset1:10
	v_add_f32_e32 v6, v66, v81
	v_mul_u32_u24_e32 v7, 0x78, v26
	v_lshlrev_b32_e32 v8, 2, v136
	v_fmac_f32_e32 v2, 0xbf5db3d7, v10
	v_add_f32_e32 v9, v3, v66
	v_dual_fmac_f32 v3, -0.5, v6 :: v_dual_add_f32 v6, v77, v84
	s_delay_alu instid0(VALU_DEP_4)
	v_add3_u32 v115, 0, v7, v8
	ds_store_b32 v102, v2 offset:80
	v_dual_add_f32 v2, v108, v138 :: v_dual_sub_f32 v61, v61, v67
	v_dual_sub_f32 v8, v58, v59 :: v_dual_add_f32 v7, v9, v81
	v_add_f32_e32 v9, v0, v77
	v_fma_f32 v0, -0.5, v6, v0
	v_mul_u32_u24_e32 v6, 0x78, v105
	v_dual_sub_f32 v11, v78, v48 :: v_dual_lshlrev_b32 v10, 2, v137
	v_fmamk_f32 v12, v8, 0x3f5db3d7, v3
	v_fmac_f32_e32 v3, 0xbf5db3d7, v8
	v_add_f32_e32 v8, v9, v84
	s_delay_alu instid0(VALU_DEP_4)
	v_add3_u32 v6, 0, v6, v10
	v_fmamk_f32 v9, v11, 0x3f5db3d7, v0
	ds_store_2addr_b32 v115, v7, v12 offset1:10
	ds_store_b32 v115, v3 offset:80
	ds_store_2addr_b32 v6, v8, v9 offset1:10
	v_add_f32_e32 v3, v70, v85
	v_fmac_f32_e32 v62, v30, v130
	v_add_f32_e32 v8, v46, v98
	v_dual_add_f32 v9, v1, v70 :: v_dual_fmac_f32 v0, 0xbf5db3d7, v11
	s_delay_alu instid0(VALU_DEP_4) | instskip(SKIP_1) | instid1(VALU_DEP_4)
	v_fmac_f32_e32 v1, -0.5, v3
	v_sub_f32_e32 v3, v71, v47
	v_fma_f32 v8, -0.5, v8, v4
	v_sub_f32_e32 v10, v49, v62
	v_add_f32_e32 v12, v54, v111
	v_mul_u32_u24_e32 v13, 0x78, v27
	v_fmamk_f32 v11, v3, 0x3f5db3d7, v1
	v_fmac_f32_e32 v1, 0xbf5db3d7, v3
	v_fmamk_f32 v3, v10, 0x3f5db3d7, v8
	v_fmac_f32_e32 v110, v31, v134
	v_fmac_f32_e32 v8, 0xbf5db3d7, v10
	v_dual_add_f32 v10, v5, v54 :: v_dual_fmac_f32 v5, -0.5, v12
	v_lshlrev_b32_e32 v14, 2, v103
	s_delay_alu instid0(VALU_DEP_4)
	v_sub_f32_e32 v12, v88, v110
	v_mul_u32_u24_e32 v18, 0x78, v99
	v_lshlrev_b32_e32 v19, 2, v104
	ds_store_b32 v6, v0 offset:80
	v_dual_add_f32 v0, v4, v46 :: v_dual_add_f32 v7, v138, v139
	v_fmamk_f32 v20, v12, 0x3f5db3d7, v5
	v_fmac_f32_e32 v5, 0xbf5db3d7, v12
	v_mul_u32_u24_e32 v4, 0x78, v100
	v_lshlrev_b32_e32 v12, 2, v101
	v_add3_u32 v99, 0, v13, v14
	v_add_f32_e32 v9, v9, v85
	v_add3_u32 v103, 0, v18, v19
	v_add_f32_e32 v0, v0, v98
	v_fma_f32 v100, -0.5, v7, v108
	v_add_f32_e32 v7, v10, v111
	v_add3_u32 v101, 0, v4, v12
	v_sub_f32_e32 v105, v140, v141
	ds_store_2addr_b32 v99, v9, v11 offset1:10
	ds_store_b32 v99, v1 offset:80
	ds_store_2addr_b32 v103, v0, v3 offset1:10
	ds_store_b32 v103, v8 offset:80
	;; [unrolled: 2-line block ×3, first 2 shown]
	v_dual_add_f32 v3, v79, v80 :: v_dual_add_f32 v2, v2, v139
	v_add_f32_e32 v79, v109, v79
	v_fmamk_f32 v104, v105, 0xbf5db3d7, v100
	s_delay_alu instid0(VALU_DEP_3)
	v_dual_fmac_f32 v100, 0x3f5db3d7, v105 :: v_dual_fmac_f32 v109, -0.5, v3
	v_sub_f32_e32 v3, v83, v97
	s_waitcnt lgkmcnt(0)
	s_barrier
	buffer_gl0_inv
	ds_load_2addr_b32 v[4:5], v86 offset1:100
	ds_load_2addr_b32 v[0:1], v74 offset0:72 offset1:172
	ds_load_2addr_b32 v[34:35], v92 offset0:88 offset1:188
	;; [unrolled: 1-line block ×14, first 2 shown]
	s_waitcnt lgkmcnt(0)
	s_barrier
	buffer_gl0_inv
	ds_store_2addr_b32 v15, v2, v104 offset1:10
	ds_store_b32 v15, v100 offset:80
	v_fmamk_f32 v15, v3, 0xbf5db3d7, v109
	v_fmac_f32_e32 v109, 0x3f5db3d7, v3
	v_dual_add_f32 v3, v63, v76 :: v_dual_sub_f32 v46, v46, v98
	v_add_f32_e32 v2, v79, v80
	v_add_f32_e32 v79, v60, v56
	v_add_f32_e32 v63, v45, v63
	s_delay_alu instid0(VALU_DEP_4)
	v_fmac_f32_e32 v45, -0.5, v3
	v_sub_f32_e32 v3, v73, v82
	v_dual_add_f32 v73, v57, v55 :: v_dual_add_f32 v60, v44, v60
	v_fma_f32 v44, -0.5, v79, v44
	v_add_f32_e32 v57, v42, v57
	v_add_f32_e32 v63, v63, v76
	s_delay_alu instid0(VALU_DEP_4)
	v_fma_f32 v67, -0.5, v73, v42
	v_add_f32_e32 v42, v43, v58
	v_add_f32_e32 v56, v60, v56
	v_fmamk_f32 v60, v72, 0xbf5db3d7, v44
	v_fmac_f32_e32 v44, 0x3f5db3d7, v72
	v_fmamk_f32 v72, v3, 0xbf5db3d7, v45
	v_fmac_f32_e32 v45, 0x3f5db3d7, v3
	v_add_f32_e32 v3, v58, v59
	v_add_f32_e32 v58, v42, v59
	v_dual_add_f32 v42, v78, v48 :: v_dual_add_f32 v55, v57, v55
	v_fmamk_f32 v57, v61, 0xbf5db3d7, v67
	s_delay_alu instid0(VALU_DEP_4)
	v_fmac_f32_e32 v43, -0.5, v3
	v_sub_f32_e32 v3, v66, v81
	v_fmac_f32_e32 v67, 0x3f5db3d7, v61
	v_add_f32_e32 v61, v38, v78
	v_fma_f32 v38, -0.5, v42, v38
	v_add_f32_e32 v42, v39, v71
	v_fmamk_f32 v59, v3, 0xbf5db3d7, v43
	v_fmac_f32_e32 v43, 0x3f5db3d7, v3
	v_dual_add_f32 v3, v71, v47 :: v_dual_sub_f32 v66, v77, v84
	s_delay_alu instid0(VALU_DEP_4) | instskip(NEXT) | instid1(VALU_DEP_2)
	v_dual_add_f32 v47, v42, v47 :: v_dual_add_f32 v42, v49, v62
	v_dual_add_f32 v48, v61, v48 :: v_dual_fmac_f32 v39, -0.5, v3
	v_sub_f32_e32 v3, v70, v85
	s_delay_alu instid0(VALU_DEP_4)
	v_fmamk_f32 v61, v66, 0xbf5db3d7, v38
	v_fmac_f32_e32 v38, 0x3f5db3d7, v66
	v_add_f32_e32 v66, v36, v49
	v_add_f32_e32 v49, v88, v110
	v_fma_f32 v36, -0.5, v42, v36
	v_fmamk_f32 v70, v3, 0xbf5db3d7, v39
	v_fmac_f32_e32 v39, 0x3f5db3d7, v3
	v_dual_add_f32 v3, v66, v62 :: v_dual_add_f32 v62, v37, v88
	v_fmac_f32_e32 v37, -0.5, v49
	v_sub_f32_e32 v49, v54, v111
	v_mul_lo_u16 v42, 0x89, v53
	v_fmamk_f32 v53, v46, 0xbf5db3d7, v36
	v_fmac_f32_e32 v36, 0x3f5db3d7, v46
	v_add_f32_e32 v46, v62, v110
	v_fmamk_f32 v54, v49, 0xbf5db3d7, v37
	ds_store_2addr_b32 v112, v2, v15 offset1:10
	ds_store_b32 v112, v109 offset:80
	ds_store_2addr_b32 v113, v56, v60 offset1:10
	ds_store_b32 v113, v44 offset:80
	ds_store_2addr_b32 v114, v63, v72 offset1:10
	ds_store_b32 v114, v45 offset:80
	ds_store_2addr_b32 v102, v55, v57 offset1:10
	ds_store_b32 v102, v67 offset:80
	ds_store_2addr_b32 v115, v58, v59 offset1:10
	ds_store_b32 v115, v43 offset:80
	ds_store_2addr_b32 v6, v48, v61 offset1:10
	ds_store_b32 v6, v38 offset:80
	ds_store_2addr_b32 v99, v47, v70 offset1:10
	ds_store_b32 v99, v39 offset:80
	ds_store_2addr_b32 v103, v3, v53 offset1:10
	ds_store_b32 v103, v36 offset:80
	ds_store_2addr_b32 v101, v46, v54 offset1:10
	v_mul_lo_u16 v3, 0x89, v52
	v_fmac_f32_e32 v37, 0x3f5db3d7, v49
	v_lshrrev_b16 v42, 12, v42
	v_mul_u32_u24_e32 v6, 0x8889, v51
	s_delay_alu instid0(VALU_DEP_4)
	v_lshrrev_b16 v15, 12, v3
	ds_store_b32 v101, v37 offset:80
	v_mul_lo_u16 v2, v42, 30
	v_lshrrev_b32_e32 v36, 20, v6
	s_waitcnt lgkmcnt(0)
	v_mul_lo_u16 v3, v15, 30
	s_barrier
	v_sub_nc_u16 v2, v106, v2
	buffer_gl0_inv
	v_and_b32_e32 v42, 0xffff, v42
	v_sub_nc_u16 v3, v50, v3
	v_and_b32_e32 v15, 0xffff, v15
	s_delay_alu instid0(VALU_DEP_3) | instskip(NEXT) | instid1(VALU_DEP_3)
	v_mul_u32_u24_e32 v42, 0x4b0, v42
	v_and_b32_e32 v37, 0xff, v3
	v_mul_lo_u16 v3, v36, 30
	s_delay_alu instid0(VALU_DEP_4) | instskip(NEXT) | instid1(VALU_DEP_3)
	v_mul_u32_u24_e32 v15, 0x4b0, v15
	v_mul_u32_u24_e32 v6, 9, v37
	s_delay_alu instid0(VALU_DEP_3) | instskip(SKIP_1) | instid1(VALU_DEP_3)
	v_sub_nc_u16 v3, v75, v3
	v_lshlrev_b32_e32 v37, 2, v37
	v_lshlrev_b32_e32 v6, 3, v6
	s_delay_alu instid0(VALU_DEP_3) | instskip(NEXT) | instid1(VALU_DEP_3)
	v_and_b32_e32 v38, 0xffff, v3
	v_add3_u32 v15, 0, v15, v37
	global_load_b128 v[70:73], v6, s[8:9] offset:160
	v_and_b32_e32 v44, 0xff, v2
	v_mul_u32_u24_e32 v3, 9, v38
	s_delay_alu instid0(VALU_DEP_2) | instskip(NEXT) | instid1(VALU_DEP_2)
	v_mul_u32_u24_e32 v2, 9, v44
	v_lshlrev_b32_e32 v3, 3, v3
	s_delay_alu instid0(VALU_DEP_2)
	v_lshlrev_b32_e32 v2, 3, v2
	s_clause 0xd
	global_load_b128 v[45:48], v2, s[8:9] offset:160
	global_load_b128 v[51:54], v2, s[8:9] offset:176
	;; [unrolled: 1-line block ×11, first 2 shown]
	global_load_b64 v[66:67], v2, s[8:9] offset:224
	global_load_b64 v[84:85], v6, s[8:9] offset:224
	;; [unrolled: 1-line block ×3, first 2 shown]
	ds_load_2addr_b32 v[2:3], v74 offset0:72 offset1:172
	ds_load_2addr_b32 v[49:50], v92 offset0:88 offset1:188
	;; [unrolled: 1-line block ×8, first 2 shown]
	s_waitcnt vmcnt(13)
	v_mul_f32_e32 v39, v1, v46
	s_waitcnt lgkmcnt(6)
	v_dual_mul_f32 v43, v49, v48 :: v_dual_mul_f32 v6, v3, v46
	v_mul_f32_e32 v63, v34, v48
	s_waitcnt vmcnt(12)
	v_mul_f32_e32 v105, v28, v54
	v_fmac_f32_e32 v39, v3, v45
	v_fma_f32 v3, v34, v47, -v43
	s_waitcnt lgkmcnt(4)
	v_dual_mul_f32 v43, v31, v52 :: v_dual_mul_f32 v34, v122, v54
	v_fma_f32 v1, v1, v45, -v6
	v_dual_mul_f32 v6, v121, v52 :: v_dual_fmac_f32 v105, v122, v53
	s_delay_alu instid0(VALU_DEP_3) | instskip(NEXT) | instid1(VALU_DEP_4)
	v_fmac_f32_e32 v43, v121, v51
	v_fma_f32 v121, v28, v53, -v34
	s_waitcnt vmcnt(11) lgkmcnt(2)
	v_mul_f32_e32 v28, v126, v58
	v_mul_f32_e32 v122, v26, v58
	ds_load_2addr_b32 v[45:46], v91 offset0:144 offset1:244
	v_fmac_f32_e32 v63, v49, v47
	ds_load_2addr_b32 v[47:48], v93 offset0:104 offset1:204
	v_fma_f32 v26, v26, v57, -v28
	s_waitcnt vmcnt(6)
	v_dual_fmac_f32 v122, v126, v57 :: v_dual_mul_f32 v57, v20, v104
	v_mul_f32_e32 v133, v21, v56
	s_waitcnt vmcnt(4)
	v_dual_mul_f32 v49, v19, v113 :: v_dual_mul_f32 v28, v120, v79
	s_delay_alu instid0(VALU_DEP_3)
	v_dual_mul_f32 v34, v33, v77 :: v_dual_fmac_f32 v57, v124, v103
	v_fma_f32 v132, v31, v51, -v6
	v_mul_f32_e32 v6, v125, v56
	v_fmac_f32_e32 v133, v125, v55
	v_mul_f32_e32 v125, v12, v60
	v_fma_f32 v56, v30, v78, -v28
	s_waitcnt vmcnt(0)
	v_mul_f32_e32 v53, v8, v89
	v_fma_f32 v134, v21, v55, -v6
	s_waitcnt lgkmcnt(2)
	v_dual_mul_f32 v6, v129, v60 :: v_dual_mul_f32 v21, v130, v62
	v_fmac_f32_e32 v125, v129, v59
	s_waitcnt lgkmcnt(0)
	v_dual_mul_f32 v55, v30, v79 :: v_dual_mul_f32 v28, v47, v81
	s_delay_alu instid0(VALU_DEP_3)
	v_fma_f32 v12, v12, v59, -v6
	v_mul_f32_e32 v6, v50, v73
	v_mul_f32_e32 v73, v35, v73
	v_fma_f32 v129, v22, v61, -v21
	v_mul_f32_e32 v21, v45, v71
	v_mul_f32_e32 v30, v29, v83
	v_fma_f32 v35, v35, v72, -v6
	v_mul_f32_e32 v6, v46, v77
	v_dual_fmac_f32 v73, v50, v72 :: v_dual_mul_f32 v72, v32, v71
	v_dual_fmac_f32 v34, v46, v76 :: v_dual_mul_f32 v59, v11, v115
	s_delay_alu instid0(VALU_DEP_3) | instskip(SKIP_1) | instid1(VALU_DEP_4)
	v_fma_f32 v31, v33, v76, -v6
	v_mul_f32_e32 v6, v123, v83
	v_fmac_f32_e32 v72, v45, v70
	v_fma_f32 v45, v24, v80, -v28
	v_mul_f32_e32 v76, v18, v98
	v_mul_f32_e32 v60, v9, v119
	v_fma_f32 v33, v29, v82, -v6
	ds_load_2addr_b32 v[28:29], v90 offset0:152 offset1:252
	v_mul_f32_e32 v126, v22, v62
	v_dual_mul_f32 v6, v127, v100 :: v_dual_mul_f32 v79, v13, v109
	v_dual_fmac_f32 v55, v120, v78 :: v_dual_mul_f32 v78, v23, v111
	s_delay_alu instid0(VALU_DEP_3)
	v_fmac_f32_e32 v126, v130, v61
	v_fma_f32 v130, v32, v70, -v21
	ds_load_2addr_b32 v[21:22], v94 offset0:64 offset1:164
	v_fma_f32 v46, v27, v99, -v6
	v_mul_f32_e32 v27, v27, v100
	v_dual_fmac_f32 v59, v128, v114 :: v_dual_lshlrev_b32 v44, 2, v44
	s_delay_alu instid0(VALU_DEP_2) | instskip(NEXT) | instid1(VALU_DEP_2)
	v_fmac_f32_e32 v27, v127, v99
	v_add3_u32 v42, 0, v42, v44
	s_waitcnt lgkmcnt(0)
	v_dual_fmac_f32 v79, v28, v108 :: v_dual_mul_f32 v6, v21, v98
	v_dual_fmac_f32 v76, v21, v97 :: v_dual_fmac_f32 v49, v22, v112
	s_delay_alu instid0(VALU_DEP_2) | instskip(SKIP_1) | instid1(VALU_DEP_1)
	v_fma_f32 v77, v18, v97, -v6
	v_mul_f32_e32 v6, v124, v104
	v_fma_f32 v58, v20, v103, -v6
	ds_load_2addr_b32 v[20:21], v95 offset0:112 offset1:212
	v_mul_f32_e32 v32, v24, v81
	v_mul_f32_e32 v24, v48, v102
	;; [unrolled: 1-line block ×4, first 2 shown]
	s_delay_alu instid0(VALU_DEP_3)
	v_fma_f32 v51, v25, v101, -v24
	s_waitcnt lgkmcnt(0)
	v_fmac_f32_e32 v53, v21, v88
	v_dual_fmac_f32 v32, v47, v80 :: v_dual_mul_f32 v47, v25, v102
	ds_load_2addr_b32 v[24:25], v68 offset0:40 offset1:140
	v_fma_f32 v80, v13, v108, -v6
	v_dual_mul_f32 v6, v128, v115 :: v_dual_mul_f32 v13, v29, v117
	v_fmac_f32_e32 v47, v48, v101
	v_fmac_f32_e32 v28, v20, v84
	s_delay_alu instid0(VALU_DEP_3) | instskip(NEXT) | instid1(VALU_DEP_4)
	v_fma_f32 v61, v11, v114, -v6
	v_fma_f32 v52, v14, v116, -v13
	s_waitcnt lgkmcnt(0)
	v_mul_f32_e32 v6, v24, v119
	v_mul_f32_e32 v11, v25, v67
	s_delay_alu instid0(VALU_DEP_2) | instskip(SKIP_1) | instid1(VALU_DEP_3)
	v_fma_f32 v62, v9, v118, -v6
	v_mul_f32_e32 v9, v10, v67
	v_fma_f32 v10, v10, v66, -v11
	v_dual_add_f32 v11, v121, v26 :: v_dual_mul_f32 v18, v131, v111
	v_dual_mul_f32 v6, v20, v85 :: v_dual_sub_f32 v13, v63, v126
	s_delay_alu instid0(VALU_DEP_4) | instskip(NEXT) | instid1(VALU_DEP_3)
	v_fmac_f32_e32 v9, v25, v66
	v_fma_f32 v11, -0.5, v11, v4
	s_delay_alu instid0(VALU_DEP_4) | instskip(SKIP_4) | instid1(VALU_DEP_4)
	v_fma_f32 v70, v23, v110, -v18
	v_mul_f32_e32 v18, v22, v113
	v_sub_f32_e32 v22, v121, v26
	v_mul_f32_e32 v48, v14, v117
	v_sub_f32_e32 v14, v3, v121
	v_fma_f32 v50, v19, v112, -v18
	v_sub_f32_e32 v18, v129, v26
	s_delay_alu instid0(VALU_DEP_4)
	v_fmac_f32_e32 v48, v29, v116
	v_fma_f32 v29, v7, v84, -v6
	v_mul_f32_e32 v6, v21, v89
	v_sub_f32_e32 v21, v26, v129
	v_add_f32_e32 v14, v14, v18
	v_dual_add_f32 v18, v4, v3 :: v_dual_fmamk_f32 v19, v13, 0x3f737871, v11
	s_delay_alu instid0(VALU_DEP_4)
	v_fma_f32 v54, v8, v88, -v6
	ds_load_2addr_b32 v[6:7], v86 offset1:100
	v_add_f32_e32 v8, v3, v129
	v_fmac_f32_e32 v11, 0xbf737871, v13
	v_add_f32_e32 v18, v18, v121
	s_waitcnt lgkmcnt(0)
	s_barrier
	v_fma_f32 v8, -0.5, v8, v4
	v_sub_f32_e32 v4, v121, v3
	v_dual_add_f32 v18, v18, v26 :: v_dual_sub_f32 v3, v3, v129
	v_sub_f32_e32 v26, v125, v9
	buffer_gl0_inv
	v_dual_add_f32 v4, v4, v21 :: v_dual_add_f32 v21, v63, v126
	s_delay_alu instid0(VALU_DEP_1) | instskip(SKIP_1) | instid1(VALU_DEP_2)
	v_fma_f32 v67, -0.5, v21, v6
	v_sub_f32_e32 v21, v133, v125
	v_dual_sub_f32 v20, v105, v122 :: v_dual_fmamk_f32 v81, v22, 0x3f737871, v67
	v_fmac_f32_e32 v67, 0xbf737871, v22
	s_delay_alu instid0(VALU_DEP_2) | instskip(SKIP_3) | instid1(VALU_DEP_4)
	v_fmamk_f32 v23, v20, 0xbf737871, v8
	v_fmac_f32_e32 v8, 0x3f737871, v20
	v_dual_fmac_f32 v19, 0x3f167918, v20 :: v_dual_fmac_f32 v30, v123, v82
	v_fmac_f32_e32 v11, 0xbf167918, v20
	v_fmac_f32_e32 v23, 0x3f167918, v13
	s_delay_alu instid0(VALU_DEP_4) | instskip(NEXT) | instid1(VALU_DEP_4)
	v_dual_fmac_f32 v8, 0xbf167918, v13 :: v_dual_add_f32 v13, v6, v63
	v_fmac_f32_e32 v19, 0x3e9e377a, v14
	s_delay_alu instid0(VALU_DEP_4) | instskip(NEXT) | instid1(VALU_DEP_4)
	v_fmac_f32_e32 v11, 0x3e9e377a, v14
	v_fmac_f32_e32 v23, 0x3e9e377a, v4
	s_delay_alu instid0(VALU_DEP_4) | instskip(SKIP_4) | instid1(VALU_DEP_4)
	v_fmac_f32_e32 v8, 0x3e9e377a, v4
	v_add_f32_e32 v4, v13, v105
	v_add_f32_e32 v14, v105, v122
	v_add_f32_e32 v20, v18, v129
	v_dual_sub_f32 v13, v63, v105 :: v_dual_sub_f32 v18, v126, v122
	v_add_f32_e32 v4, v4, v122
	s_delay_alu instid0(VALU_DEP_4) | instskip(SKIP_1) | instid1(VALU_DEP_4)
	v_fma_f32 v66, -0.5, v14, v6
	v_dual_sub_f32 v6, v122, v126 :: v_dual_fmac_f32 v81, 0xbf167918, v3
	v_add_f32_e32 v13, v13, v18
	s_delay_alu instid0(VALU_DEP_4) | instskip(NEXT) | instid1(VALU_DEP_4)
	v_dual_add_f32 v71, v4, v126 :: v_dual_sub_f32 v4, v105, v63
	v_fmamk_f32 v63, v3, 0xbf737871, v66
	v_fmac_f32_e32 v78, v131, v110
	v_fmac_f32_e32 v66, 0x3f737871, v3
	s_delay_alu instid0(VALU_DEP_4) | instskip(NEXT) | instid1(VALU_DEP_4)
	v_dual_fmac_f32 v67, 0x3f167918, v3 :: v_dual_add_f32 v4, v4, v6
	v_dual_fmac_f32 v63, 0xbf167918, v22 :: v_dual_add_f32 v6, v134, v12
	s_delay_alu instid0(VALU_DEP_3) | instskip(NEXT) | instid1(VALU_DEP_3)
	v_fmac_f32_e32 v66, 0x3f167918, v22
	v_dual_add_f32 v14, v132, v10 :: v_dual_fmac_f32 v81, 0x3e9e377a, v4
	s_delay_alu instid0(VALU_DEP_3) | instskip(NEXT) | instid1(VALU_DEP_3)
	v_dual_fmac_f32 v63, 0x3e9e377a, v13 :: v_dual_fmac_f32 v60, v24, v118
	v_fmac_f32_e32 v66, 0x3e9e377a, v13
	v_fma_f32 v3, -0.5, v6, v1
	v_dual_sub_f32 v6, v43, v9 :: v_dual_fmac_f32 v67, 0x3e9e377a, v4
	v_dual_sub_f32 v4, v132, v134 :: v_dual_sub_f32 v13, v10, v12
	v_sub_f32_e32 v22, v12, v10
	s_delay_alu instid0(VALU_DEP_3) | instskip(NEXT) | instid1(VALU_DEP_3)
	v_fmamk_f32 v18, v6, 0x3f737871, v3
	v_dual_fmac_f32 v3, 0xbf737871, v6 :: v_dual_add_f32 v4, v4, v13
	v_add_f32_e32 v13, v1, v132
	s_delay_alu instid0(VALU_DEP_3) | instskip(NEXT) | instid1(VALU_DEP_3)
	v_dual_fmac_f32 v1, -0.5, v14 :: v_dual_fmac_f32 v18, 0x3f167918, v21
	v_fmac_f32_e32 v3, 0xbf167918, v21
	s_delay_alu instid0(VALU_DEP_3) | instskip(NEXT) | instid1(VALU_DEP_3)
	v_add_f32_e32 v13, v13, v134
	v_fmamk_f32 v24, v21, 0xbf737871, v1
	v_fmac_f32_e32 v1, 0x3f737871, v21
	v_dual_add_f32 v21, v43, v9 :: v_dual_sub_f32 v14, v134, v132
	s_delay_alu instid0(VALU_DEP_3) | instskip(NEXT) | instid1(VALU_DEP_3)
	v_dual_add_f32 v13, v13, v12 :: v_dual_fmac_f32 v24, 0x3f167918, v6
	v_dual_fmac_f32 v1, 0xbf167918, v6 :: v_dual_add_f32 v6, v133, v125
	s_delay_alu instid0(VALU_DEP_3) | instskip(SKIP_1) | instid1(VALU_DEP_4)
	v_add_f32_e32 v14, v14, v22
	v_fmac_f32_e32 v18, 0x3e9e377a, v4
	v_dual_fmac_f32 v3, 0x3e9e377a, v4 :: v_dual_add_f32 v4, v13, v10
	v_sub_f32_e32 v10, v132, v10
	s_delay_alu instid0(VALU_DEP_4)
	v_fmac_f32_e32 v24, 0x3e9e377a, v14
	v_fmac_f32_e32 v1, 0x3e9e377a, v14
	v_sub_f32_e32 v13, v43, v133
	v_fma_f32 v6, -0.5, v6, v39
	v_sub_f32_e32 v14, v9, v125
	v_sub_f32_e32 v12, v134, v12
	v_dual_add_f32 v22, v39, v43 :: v_dual_fmac_f32 v39, -0.5, v21
	s_delay_alu instid0(VALU_DEP_4) | instskip(NEXT) | instid1(VALU_DEP_4)
	v_fmamk_f32 v25, v10, 0xbf737871, v6
	v_add_f32_e32 v13, v13, v14
	v_fmac_f32_e32 v6, 0x3f737871, v10
	s_delay_alu instid0(VALU_DEP_4) | instskip(SKIP_2) | instid1(VALU_DEP_4)
	v_dual_add_f32 v14, v22, v133 :: v_dual_sub_f32 v21, v133, v43
	v_fmamk_f32 v22, v12, 0x3f737871, v39
	v_fmac_f32_e32 v25, 0xbf167918, v12
	v_fmac_f32_e32 v6, 0x3f167918, v12
	s_delay_alu instid0(VALU_DEP_4) | instskip(NEXT) | instid1(VALU_DEP_4)
	v_dual_fmac_f32 v39, 0xbf737871, v12 :: v_dual_add_f32 v12, v14, v125
	v_fmac_f32_e32 v22, 0xbf167918, v10
	s_delay_alu instid0(VALU_DEP_4) | instskip(NEXT) | instid1(VALU_DEP_3)
	v_dual_add_f32 v14, v21, v26 :: v_dual_fmac_f32 v25, 0x3e9e377a, v13
	v_fmac_f32_e32 v39, 0x3f167918, v10
	s_delay_alu instid0(VALU_DEP_4) | instskip(NEXT) | instid1(VALU_DEP_3)
	v_dual_mul_f32 v10, 0xbf167918, v18 :: v_dual_add_f32 v9, v12, v9
	v_fmac_f32_e32 v22, 0x3e9e377a, v14
	s_delay_alu instid0(VALU_DEP_4) | instskip(NEXT) | instid1(VALU_DEP_4)
	v_mul_f32_e32 v21, 0x3f167918, v25
	v_dual_fmac_f32 v6, 0x3e9e377a, v13 :: v_dual_fmac_f32 v39, 0x3e9e377a, v14
	v_mul_f32_e32 v13, 0x3e9e377a, v1
	s_delay_alu instid0(VALU_DEP_4) | instskip(SKIP_3) | instid1(VALU_DEP_4)
	v_mul_f32_e32 v12, 0x3f737871, v22
	v_dual_fmac_f32 v10, 0x3f4f1bbd, v25 :: v_dual_mul_f32 v25, 0x3f4f1bbd, v3
	v_fmac_f32_e32 v21, 0x3f4f1bbd, v18
	v_mul_f32_e32 v43, 0xbf737871, v24
	v_fmac_f32_e32 v12, 0x3e9e377a, v24
	v_fma_f32 v13, 0x3f737871, v39, -v13
	v_mul_f32_e32 v24, 0x3e9e377a, v39
	v_fma_f32 v39, 0x3f167918, v6, -v25
	v_mul_f32_e32 v6, 0x3f4f1bbd, v6
	v_dual_add_f32 v14, v20, v4 :: v_dual_fmac_f32 v43, 0x3e9e377a, v22
	v_add_f32_e32 v22, v23, v12
	v_fma_f32 v82, 0xbf737871, v1, -v24
	v_add_f32_e32 v24, v8, v13
	v_fma_f32 v83, 0xbf167918, v3, -v6
	v_dual_add_f32 v25, v11, v39 :: v_dual_sub_f32 v26, v20, v4
	v_sub_f32_e32 v20, v23, v12
	v_sub_f32_e32 v23, v11, v39
	v_dual_sub_f32 v39, v73, v78 :: v_dual_add_f32 v18, v19, v21
	v_sub_f32_e32 v19, v19, v21
	v_sub_f32_e32 v21, v8, v13
	v_add_f32_e32 v13, v33, v46
	v_dual_add_f32 v3, v63, v10 :: v_dual_add_f32 v4, v81, v43
	v_add_f32_e32 v8, v66, v83
	v_dual_sub_f32 v10, v63, v10 :: v_dual_sub_f32 v11, v81, v43
	s_delay_alu instid0(VALU_DEP_4)
	v_fma_f32 v63, -0.5, v13, v5
	v_sub_f32_e32 v13, v66, v83
	v_dual_sub_f32 v43, v35, v33 :: v_dual_sub_f32 v66, v70, v46
	v_add_f32_e32 v1, v71, v9
	v_add_f32_e32 v6, v67, v82
	v_sub_f32_e32 v9, v71, v9
	v_sub_f32_e32 v12, v67, v82
	v_dual_add_f32 v43, v43, v66 :: v_dual_add_f32 v66, v5, v35
	v_add_f32_e32 v67, v35, v70
	v_fmamk_f32 v81, v39, 0x3f737871, v63
	v_sub_f32_e32 v71, v30, v27
	s_delay_alu instid0(VALU_DEP_4) | instskip(NEXT) | instid1(VALU_DEP_4)
	v_dual_fmac_f32 v63, 0xbf737871, v39 :: v_dual_add_f32 v66, v66, v33
	v_fmac_f32_e32 v5, -0.5, v67
	v_sub_f32_e32 v67, v33, v35
	s_delay_alu instid0(VALU_DEP_4) | instskip(NEXT) | instid1(VALU_DEP_4)
	v_fmac_f32_e32 v81, 0x3f167918, v71
	v_dual_fmac_f32 v63, 0xbf167918, v71 :: v_dual_add_f32 v66, v66, v46
	s_delay_alu instid0(VALU_DEP_4) | instskip(SKIP_1) | instid1(VALU_DEP_4)
	v_fmamk_f32 v83, v71, 0xbf737871, v5
	v_fmac_f32_e32 v5, 0x3f737871, v71
	v_fmac_f32_e32 v81, 0x3e9e377a, v43
	s_delay_alu instid0(VALU_DEP_4)
	v_fmac_f32_e32 v63, 0x3e9e377a, v43
	v_add_f32_e32 v43, v66, v70
	v_dual_add_f32 v66, v30, v27 :: v_dual_add_f32 v71, v73, v78
	v_fmac_f32_e32 v83, 0x3f167918, v39
	v_fmac_f32_e32 v5, 0xbf167918, v39
	v_add_f32_e32 v39, v7, v73
	v_sub_f32_e32 v33, v33, v46
	v_fma_f32 v66, -0.5, v66, v7
	v_fmac_f32_e32 v7, -0.5, v71
	v_sub_f32_e32 v35, v35, v70
	v_add_f32_e32 v39, v39, v30
	s_delay_alu instid0(VALU_DEP_3) | instskip(SKIP_1) | instid1(VALU_DEP_3)
	v_fmamk_f32 v71, v33, 0x3f737871, v7
	v_fmac_f32_e32 v7, 0xbf737871, v33
	v_add_f32_e32 v39, v39, v27
	s_delay_alu instid0(VALU_DEP_3) | instskip(SKIP_1) | instid1(VALU_DEP_4)
	v_dual_fmac_f32 v71, 0xbf167918, v35 :: v_dual_sub_f32 v82, v46, v70
	v_dual_sub_f32 v70, v78, v27 :: v_dual_sub_f32 v27, v27, v78
	v_fmac_f32_e32 v7, 0x3f167918, v35
	s_delay_alu instid0(VALU_DEP_3) | instskip(NEXT) | instid1(VALU_DEP_1)
	v_add_f32_e32 v67, v67, v82
	v_fmac_f32_e32 v83, 0x3e9e377a, v67
	v_fmac_f32_e32 v5, 0x3e9e377a, v67
	v_dual_sub_f32 v67, v73, v30 :: v_dual_sub_f32 v30, v30, v73
	v_sub_f32_e32 v73, v76, v79
	ds_store_2addr_b32 v42, v14, v18 offset1:30
	ds_store_2addr_b32 v42, v22, v24 offset0:60 offset1:90
	ds_store_2addr_b32 v42, v25, v26 offset0:120 offset1:150
	v_mul_u32_u24_e32 v18, 0x4b0, v36
	v_dual_add_f32 v46, v67, v70 :: v_dual_add_f32 v27, v30, v27
	v_fmamk_f32 v70, v35, 0xbf737871, v66
	v_dual_add_f32 v67, v39, v78 :: v_dual_sub_f32 v78, v80, v29
	s_delay_alu instid0(VALU_DEP_3) | instskip(SKIP_3) | instid1(VALU_DEP_4)
	v_dual_add_f32 v30, v77, v80 :: v_dual_fmac_f32 v71, 0x3e9e377a, v27
	v_fmac_f32_e32 v7, 0x3e9e377a, v27
	v_dual_sub_f32 v27, v45, v77 :: v_dual_fmac_f32 v66, 0x3f737871, v35
	v_fmac_f32_e32 v70, 0xbf167918, v33
	v_fma_f32 v39, -0.5, v30, v130
	v_dual_add_f32 v35, v45, v29 :: v_dual_lshlrev_b32 v22, 2, v38
	s_delay_alu instid0(VALU_DEP_4) | instskip(SKIP_1) | instid1(VALU_DEP_3)
	v_dual_fmac_f32 v66, 0x3f167918, v33 :: v_dual_sub_f32 v33, v29, v80
	v_add_nc_u32_e32 v14, 0x200, v42
	v_add3_u32 v18, 0, v18, v22
	s_delay_alu instid0(VALU_DEP_3) | instskip(SKIP_2) | instid1(VALU_DEP_2)
	v_add_f32_e32 v27, v27, v33
	v_dual_add_f32 v33, v130, v45 :: v_dual_sub_f32 v30, v32, v28
	v_dual_fmac_f32 v130, -0.5, v35 :: v_dual_sub_f32 v35, v77, v45
	v_add_f32_e32 v33, v33, v77
	s_delay_alu instid0(VALU_DEP_2) | instskip(NEXT) | instid1(VALU_DEP_2)
	v_add_f32_e32 v35, v35, v78
	v_dual_fmac_f32 v66, 0x3e9e377a, v46 :: v_dual_add_f32 v33, v33, v80
	v_fmac_f32_e32 v70, 0x3e9e377a, v46
	v_fmamk_f32 v46, v30, 0x3f737871, v39
	v_fmac_f32_e32 v39, 0xbf737871, v30
	s_delay_alu instid0(VALU_DEP_2) | instskip(NEXT) | instid1(VALU_DEP_2)
	v_fmac_f32_e32 v46, 0x3f167918, v73
	v_fmac_f32_e32 v39, 0xbf167918, v73
	s_delay_alu instid0(VALU_DEP_2) | instskip(NEXT) | instid1(VALU_DEP_2)
	v_fmac_f32_e32 v46, 0x3e9e377a, v27
	v_fmac_f32_e32 v39, 0x3e9e377a, v27
	v_add_f32_e32 v27, v33, v29
	v_sub_f32_e32 v29, v45, v29
	v_fmamk_f32 v82, v73, 0xbf737871, v130
	v_dual_fmac_f32 v130, 0x3f737871, v73 :: v_dual_sub_f32 v45, v77, v80
	v_add_f32_e32 v77, v72, v32
	s_delay_alu instid0(VALU_DEP_3) | instskip(NEXT) | instid1(VALU_DEP_3)
	v_dual_add_f32 v73, v32, v28 :: v_dual_fmac_f32 v82, 0x3f167918, v30
	v_fmac_f32_e32 v130, 0xbf167918, v30
	v_add_f32_e32 v30, v76, v79
	v_sub_f32_e32 v33, v32, v76
	v_sub_f32_e32 v32, v76, v32
	v_fmac_f32_e32 v82, 0x3e9e377a, v35
	v_fmac_f32_e32 v130, 0x3e9e377a, v35
	v_fma_f32 v35, -0.5, v30, v72
	v_dual_fmac_f32 v72, -0.5, v73 :: v_dual_sub_f32 v73, v79, v28
	v_sub_f32_e32 v30, v28, v79
	s_delay_alu instid0(VALU_DEP_2) | instskip(NEXT) | instid1(VALU_DEP_3)
	v_fmamk_f32 v80, v45, 0x3f737871, v72
	v_add_f32_e32 v32, v32, v73
	s_delay_alu instid0(VALU_DEP_2) | instskip(NEXT) | instid1(VALU_DEP_1)
	v_fmac_f32_e32 v80, 0xbf167918, v29
	v_fmac_f32_e32 v80, 0x3e9e377a, v32
	v_add_f32_e32 v30, v33, v30
	v_add_f32_e32 v33, v77, v76
	s_delay_alu instid0(VALU_DEP_1) | instskip(NEXT) | instid1(VALU_DEP_1)
	v_dual_add_f32 v33, v33, v79 :: v_dual_fmac_f32 v72, 0xbf737871, v45
	v_add_f32_e32 v73, v33, v28
	v_dual_fmamk_f32 v78, v29, 0xbf737871, v35 :: v_dual_mul_f32 v77, 0xbf737871, v82
	v_fmac_f32_e32 v35, 0x3f737871, v29
	s_delay_alu instid0(VALU_DEP_4) | instskip(SKIP_2) | instid1(VALU_DEP_4)
	v_fmac_f32_e32 v72, 0x3f167918, v29
	v_mul_f32_e32 v29, 0x3f737871, v80
	v_mul_f32_e32 v33, 0x3f4f1bbd, v39
	v_fmac_f32_e32 v35, 0x3f167918, v45
	s_delay_alu instid0(VALU_DEP_3) | instskip(SKIP_1) | instid1(VALU_DEP_3)
	v_dual_fmac_f32 v72, 0x3e9e377a, v32 :: v_dual_fmac_f32 v29, 0x3e9e377a, v82
	v_fmac_f32_e32 v77, 0x3e9e377a, v80
	v_fmac_f32_e32 v35, 0x3e9e377a, v30
	v_mul_f32_e32 v28, 0x3e9e377a, v130
	s_delay_alu instid0(VALU_DEP_2) | instskip(NEXT) | instid1(VALU_DEP_2)
	v_fma_f32 v79, 0x3f167918, v35, -v33
	v_fma_f32 v82, 0x3f737871, v72, -v28
	v_fmac_f32_e32 v78, 0xbf167918, v45
	s_delay_alu instid0(VALU_DEP_1) | instskip(SKIP_3) | instid1(VALU_DEP_4)
	v_dual_add_f32 v33, v83, v29 :: v_dual_fmac_f32 v78, 0x3e9e377a, v30
	v_add_f32_e32 v30, v43, v27
	v_sub_f32_e32 v43, v43, v27
	v_dual_add_f32 v27, v67, v73 :: v_dual_mul_f32 v28, 0x3e9e377a, v72
	v_mul_f32_e32 v45, 0x3f167918, v78
	s_delay_alu instid0(VALU_DEP_1) | instskip(SKIP_3) | instid1(VALU_DEP_4)
	v_fmac_f32_e32 v45, 0x3f4f1bbd, v46
	v_mul_f32_e32 v76, 0xbf167918, v46
	v_dual_mul_f32 v46, 0x3f4f1bbd, v35 :: v_dual_add_f32 v35, v5, v82
	v_sub_f32_e32 v5, v5, v82
	v_add_f32_e32 v32, v81, v45
	s_delay_alu instid0(VALU_DEP_4)
	v_dual_sub_f32 v45, v81, v45 :: v_dual_fmac_f32 v76, 0x3f4f1bbd, v78
	v_sub_f32_e32 v81, v67, v73
	v_fma_f32 v72, 0xbf167918, v39, -v46
	v_sub_f32_e32 v46, v83, v29
	v_add_f32_e32 v83, v58, v61
	v_add_f32_e32 v29, v71, v77
	v_sub_f32_e32 v73, v62, v61
	v_add_f32_e32 v85, v66, v72
	v_add_f32_e32 v39, v63, v79
	v_fma_f32 v67, -0.5, v83, v0
	v_dual_sub_f32 v82, v70, v76 :: v_dual_sub_f32 v83, v71, v77
	v_fma_f32 v78, 0xbf737871, v130, -v28
	v_dual_add_f32 v28, v70, v76 :: v_dual_sub_f32 v71, v56, v58
	v_dual_sub_f32 v77, v57, v59 :: v_dual_sub_f32 v70, v55, v60
	s_delay_alu instid0(VALU_DEP_3) | instskip(SKIP_1) | instid1(VALU_DEP_4)
	v_add_f32_e32 v80, v7, v78
	v_sub_f32_e32 v7, v7, v78
	v_dual_add_f32 v78, v56, v62 :: v_dual_add_f32 v71, v71, v73
	s_delay_alu instid0(VALU_DEP_4)
	v_fmamk_f32 v76, v70, 0x3f737871, v67
	v_fmac_f32_e32 v67, 0xbf737871, v70
	v_add_f32_e32 v73, v0, v56
	v_sub_f32_e32 v63, v63, v79
	ds_store_2addr_b32 v42, v19, v20 offset0:180 offset1:210
	ds_store_2addr_b32 v14, v21, v23 offset0:112 offset1:142
	ds_store_2addr_b32 v15, v30, v32 offset1:30
	v_fmac_f32_e32 v76, 0x3f167918, v77
	v_dual_fmac_f32 v67, 0xbf167918, v77 :: v_dual_fmac_f32 v0, -0.5, v78
	v_sub_f32_e32 v84, v66, v72
	v_add_f32_e32 v66, v73, v58
	s_delay_alu instid0(VALU_DEP_4) | instskip(NEXT) | instid1(VALU_DEP_4)
	v_dual_fmac_f32 v76, 0x3e9e377a, v71 :: v_dual_sub_f32 v73, v61, v62
	v_fmac_f32_e32 v67, 0x3e9e377a, v71
	v_dual_fmamk_f32 v71, v77, 0xbf737871, v0 :: v_dual_sub_f32 v72, v58, v56
	v_dual_fmac_f32 v0, 0x3f737871, v77 :: v_dual_add_f32 v77, v2, v55
	v_sub_f32_e32 v56, v56, v62
	s_delay_alu instid0(VALU_DEP_3)
	v_dual_fmac_f32 v71, 0x3f167918, v70 :: v_dual_add_f32 v78, v57, v59
	v_sub_f32_e32 v58, v58, v61
	v_add_f32_e32 v72, v72, v73
	v_add_f32_e32 v66, v66, v61
	;; [unrolled: 1-line block ×3, first 2 shown]
	v_sub_f32_e32 v61, v55, v57
	v_dual_sub_f32 v77, v60, v59 :: v_dual_fmac_f32 v0, 0xbf167918, v70
	s_delay_alu instid0(VALU_DEP_4) | instskip(SKIP_1) | instid1(VALU_DEP_3)
	v_dual_fmac_f32 v71, 0x3e9e377a, v72 :: v_dual_add_f32 v70, v66, v62
	v_fma_f32 v66, -0.5, v78, v2
	v_dual_add_f32 v61, v61, v77 :: v_dual_fmac_f32 v0, 0x3e9e377a, v72
	v_add_f32_e32 v72, v73, v59
	s_delay_alu instid0(VALU_DEP_3)
	v_dual_sub_f32 v78, v49, v48 :: v_dual_fmamk_f32 v73, v56, 0xbf737871, v66
	v_add_nc_u32_e32 v19, 0x200, v15
	ds_store_2addr_b32 v15, v33, v35 offset0:60 offset1:90
	ds_store_2addr_b32 v15, v39, v43 offset0:120 offset1:150
	;; [unrolled: 1-line block ×4, first 2 shown]
	v_add_nc_u32_e32 v5, 0x200, v18
	v_dual_fmac_f32 v73, 0xbf167918, v58 :: v_dual_add_f32 v62, v55, v60
	v_sub_f32_e32 v55, v57, v55
	v_sub_f32_e32 v57, v59, v60
	v_fmac_f32_e32 v66, 0x3f737871, v56
	s_delay_alu instid0(VALU_DEP_4) | instskip(SKIP_1) | instid1(VALU_DEP_4)
	v_dual_fmac_f32 v73, 0x3e9e377a, v61 :: v_dual_fmac_f32 v2, -0.5, v62
	v_add_f32_e32 v59, v50, v52
	v_dual_add_f32 v62, v72, v60 :: v_dual_add_f32 v55, v55, v57
	s_delay_alu instid0(VALU_DEP_4) | instskip(NEXT) | instid1(VALU_DEP_3)
	v_fmac_f32_e32 v66, 0x3f167918, v58
	v_fma_f32 v57, -0.5, v59, v31
	v_sub_f32_e32 v59, v47, v53
	s_delay_alu instid0(VALU_DEP_3) | instskip(NEXT) | instid1(VALU_DEP_2)
	v_dual_fmac_f32 v66, 0x3e9e377a, v61 :: v_dual_add_f32 v61, v51, v54
	v_dual_fmamk_f32 v72, v58, 0x3f737871, v2 :: v_dual_fmamk_f32 v77, v59, 0x3f737871, v57
	v_dual_fmac_f32 v2, 0xbf737871, v58 :: v_dual_fmac_f32 v57, 0xbf737871, v59
	v_sub_f32_e32 v60, v54, v52
	s_delay_alu instid0(VALU_DEP_3) | instskip(NEXT) | instid1(VALU_DEP_3)
	v_fmac_f32_e32 v72, 0xbf167918, v56
	v_dual_fmac_f32 v77, 0x3f167918, v78 :: v_dual_fmac_f32 v2, 0x3f167918, v56
	v_dual_add_f32 v56, v31, v51 :: v_dual_fmac_f32 v31, -0.5, v61
	v_fmac_f32_e32 v57, 0xbf167918, v78
	s_delay_alu instid0(VALU_DEP_4) | instskip(NEXT) | instid1(VALU_DEP_3)
	v_dual_fmac_f32 v72, 0x3e9e377a, v55 :: v_dual_sub_f32 v61, v52, v54
	v_add_f32_e32 v56, v56, v50
	s_delay_alu instid0(VALU_DEP_1) | instskip(SKIP_3) | instid1(VALU_DEP_4)
	v_dual_fmac_f32 v2, 0x3e9e377a, v55 :: v_dual_add_f32 v55, v56, v52
	v_fmamk_f32 v56, v78, 0xbf737871, v31
	v_fmac_f32_e32 v31, 0x3f737871, v78
	v_sub_f32_e32 v58, v51, v50
	v_dual_sub_f32 v78, v48, v53 :: v_dual_add_f32 v55, v55, v54
	s_delay_alu instid0(VALU_DEP_4) | instskip(NEXT) | instid1(VALU_DEP_3)
	v_fmac_f32_e32 v56, 0x3f167918, v59
	v_dual_fmac_f32 v31, 0xbf167918, v59 :: v_dual_add_f32 v58, v58, v60
	v_add_f32_e32 v59, v34, v47
	v_dual_sub_f32 v60, v50, v51 :: v_dual_sub_f32 v51, v51, v54
	s_delay_alu instid0(VALU_DEP_3) | instskip(NEXT) | instid1(VALU_DEP_2)
	v_dual_add_f32 v54, v47, v53 :: v_dual_fmac_f32 v77, 0x3e9e377a, v58
	v_dual_fmac_f32 v57, 0x3e9e377a, v58 :: v_dual_add_f32 v58, v60, v61
	v_sub_f32_e32 v50, v50, v52
	v_add_f32_e32 v60, v49, v48
	v_dual_sub_f32 v52, v47, v49 :: v_dual_sub_f32 v47, v49, v47
	s_delay_alu instid0(VALU_DEP_4) | instskip(SKIP_1) | instid1(VALU_DEP_4)
	v_fmac_f32_e32 v31, 0x3e9e377a, v58
	v_add_f32_e32 v49, v59, v49
	v_fma_f32 v60, -0.5, v60, v34
	v_fmac_f32_e32 v34, -0.5, v54
	v_add_f32_e32 v47, v47, v78
	v_fmac_f32_e32 v56, 0x3e9e377a, v58
	v_mul_f32_e32 v59, 0xbf167918, v77
	v_fmamk_f32 v58, v51, 0xbf737871, v60
	v_fmamk_f32 v61, v50, 0x3f737871, v34
	v_fmac_f32_e32 v60, 0x3f737871, v51
	s_delay_alu instid0(VALU_DEP_2) | instskip(NEXT) | instid1(VALU_DEP_1)
	v_fmac_f32_e32 v61, 0xbf167918, v51
	v_fmac_f32_e32 v61, 0x3e9e377a, v47
	;; [unrolled: 1-line block ×3, first 2 shown]
	v_sub_f32_e32 v54, v53, v48
	v_add_f32_e32 v48, v49, v48
	v_fmac_f32_e32 v58, 0xbf167918, v50
	v_fmac_f32_e32 v60, 0x3f167918, v50
	s_delay_alu instid0(VALU_DEP_3) | instskip(SKIP_1) | instid1(VALU_DEP_2)
	v_dual_fmac_f32 v34, 0x3f167918, v51 :: v_dual_add_f32 v51, v48, v53
	v_mul_f32_e32 v53, 0x3f737871, v61
	v_fmac_f32_e32 v34, 0x3e9e377a, v47
	v_dual_add_f32 v47, v70, v55 :: v_dual_add_f32 v52, v52, v54
	s_delay_alu instid0(VALU_DEP_3) | instskip(SKIP_2) | instid1(VALU_DEP_3)
	v_fmac_f32_e32 v53, 0x3e9e377a, v56
	v_dual_sub_f32 v55, v70, v55 :: v_dual_mul_f32 v54, 0x3f4f1bbd, v57
	v_sub_f32_e32 v98, v62, v51
	v_dual_fmac_f32 v58, 0x3e9e377a, v52 :: v_dual_add_f32 v49, v71, v53
	v_dual_sub_f32 v53, v71, v53 :: v_dual_fmac_f32 v60, 0x3e9e377a, v52
	v_mul_f32_e32 v52, 0x3e9e377a, v31
	s_delay_alu instid0(VALU_DEP_3) | instskip(SKIP_4) | instid1(VALU_DEP_4)
	v_fmac_f32_e32 v59, 0x3f4f1bbd, v58
	v_mul_f32_e32 v50, 0x3f167918, v58
	v_mul_f32_e32 v56, 0xbf737871, v56
	v_fma_f32 v54, 0x3f167918, v60, -v54
	v_fma_f32 v52, 0x3f737871, v34, -v52
	v_dual_sub_f32 v99, v73, v59 :: v_dual_fmac_f32 v50, 0x3f4f1bbd, v77
	v_mul_f32_e32 v34, 0x3e9e377a, v34
	v_mul_f32_e32 v60, 0x3f4f1bbd, v60
	v_fmac_f32_e32 v56, 0x3e9e377a, v61
	v_add_f32_e32 v58, v0, v52
	v_add_f32_e32 v48, v76, v50
	v_fma_f32 v77, 0xbf737871, v31, -v34
	v_fma_f32 v57, 0xbf167918, v57, -v60
	v_add_f32_e32 v61, v67, v54
	v_sub_f32_e32 v50, v76, v50
	v_add_f32_e32 v34, v73, v59
	v_sub_f32_e32 v0, v0, v52
	v_dual_sub_f32 v52, v67, v54 :: v_dual_add_f32 v31, v62, v51
	v_dual_add_f32 v88, v72, v56 :: v_dual_add_f32 v89, v2, v77
	v_dual_add_f32 v97, v66, v57 :: v_dual_sub_f32 v100, v72, v56
	v_sub_f32_e32 v2, v2, v77
	v_sub_f32_e32 v101, v66, v57
	ds_store_2addr_b32 v18, v47, v48 offset1:30
	ds_store_2addr_b32 v18, v49, v58 offset0:60 offset1:90
	ds_store_2addr_b32 v18, v61, v55 offset0:120 offset1:150
	;; [unrolled: 1-line block ×4, first 2 shown]
	s_waitcnt lgkmcnt(0)
	s_barrier
	buffer_gl0_inv
	ds_load_2addr_b32 v[44:45], v86 offset1:100
	ds_load_2addr_b32 v[46:47], v74 offset0:72 offset1:172
	ds_load_2addr_b32 v[60:61], v92 offset0:88 offset1:188
	;; [unrolled: 1-line block ×14, first 2 shown]
	s_waitcnt lgkmcnt(0)
	s_barrier
	buffer_gl0_inv
	ds_store_2addr_b32 v42, v1, v3 offset1:30
	ds_store_2addr_b32 v42, v4, v6 offset0:60 offset1:90
	ds_store_2addr_b32 v42, v8, v9 offset0:120 offset1:150
	ds_store_2addr_b32 v42, v10, v11 offset0:180 offset1:210
	ds_store_2addr_b32 v14, v12, v13 offset0:112 offset1:142
	ds_store_2addr_b32 v15, v27, v28 offset1:30
	ds_store_2addr_b32 v15, v29, v80 offset0:60 offset1:90
	ds_store_2addr_b32 v15, v85, v81 offset0:120 offset1:150
	ds_store_2addr_b32 v15, v82, v83 offset0:180 offset1:210
	ds_store_2addr_b32 v19, v7, v84 offset0:112 offset1:142
	;; [unrolled: 5-line block ×3, first 2 shown]
	s_waitcnt lgkmcnt(0)
	s_barrier
	buffer_gl0_inv
	s_and_saveexec_b32 s2, vcc_lo
	s_cbranch_execz .LBB0_15
; %bb.14:
	v_mul_u32_u24_e32 v0, 9, v75
	v_mad_u32_u24 v42, v75, 9, 0xfffffc7c
	v_mul_lo_u32 v17, s0, v17
	v_lshlrev_b64 v[40:41], 3, v[40:41]
	s_delay_alu instid0(VALU_DEP_4)
	v_dual_mov_b32 v43, 0 :: v_dual_lshlrev_b32 v18, 3, v0
	s_clause 0x4
	global_load_b128 v[0:3], v18, s[8:9] offset:2320
	global_load_b128 v[12:15], v18, s[8:9] offset:2336
	;; [unrolled: 1-line block ×4, first 2 shown]
	global_load_b64 v[88:89], v18, s[8:9] offset:2384
	v_lshlrev_b64 v[18:19], 3, v[42:43]
	s_delay_alu instid0(VALU_DEP_1) | instskip(NEXT) | instid1(VALU_DEP_2)
	v_add_co_u32 v18, vcc_lo, s8, v18
	v_add_co_ci_u32_e32 v19, vcc_lo, s9, v19, vcc_lo
	s_clause 0x4
	global_load_b128 v[24:27], v[18:19], off offset:2320
	global_load_b128 v[36:39], v[18:19], off offset:2336
	;; [unrolled: 1-line block ×4, first 2 shown]
	global_load_b64 v[98:99], v[18:19], off offset:2384
	ds_load_2addr_b32 v[80:81], v69 offset0:32 offset1:132
	ds_load_2addr_b32 v[84:85], v65 offset0:120 offset1:220
	;; [unrolled: 1-line block ×4, first 2 shown]
	v_mul_lo_u32 v18, s1, v16
	v_mad_u64_u32 v[64:65], null, s0, v16, 0
	v_mul_u32_u24_e32 v16, 9, v106
	ds_load_2addr_b32 v[74:75], v74 offset0:72 offset1:172
	ds_load_2addr_b32 v[104:105], v93 offset0:104 offset1:204
	ds_load_2addr_b32 v[100:101], v94 offset0:64 offset1:164
	ds_load_2addr_b32 v[102:103], v95 offset0:112 offset1:212
	ds_load_2addr_b32 v[115:116], v90 offset0:152 offset1:252
	ds_load_2addr_b32 v[117:118], v91 offset0:144 offset1:244
	ds_load_2addr_b32 v[92:93], v92 offset0:88 offset1:188
	ds_load_2addr_b32 v[94:95], v87 offset0:48 offset1:148
	ds_load_2addr_b32 v[96:97], v96 offset0:96 offset1:196
	ds_load_2addr_b32 v[90:91], v107 offset0:8 offset1:108
	ds_load_2addr_b32 v[86:87], v86 offset1:100
	v_lshlrev_b32_e32 v42, 3, v16
	v_add3_u32 v65, v65, v17, v18
	s_waitcnt vmcnt(8) lgkmcnt(13)
	v_mul_f32_e32 v121, v14, v84
	s_waitcnt vmcnt(7) lgkmcnt(12)
	v_mul_f32_e32 v122, v6, v68
	;; [unrolled: 2-line block ×3, first 2 shown]
	s_clause 0x4
	global_load_b128 v[16:19], v42, s[8:9] offset:2320
	global_load_b128 v[20:23], v42, s[8:9] offset:2336
	;; [unrolled: 1-line block ×4, first 2 shown]
	global_load_b64 v[119:120], v42, s[8:9] offset:2384
	s_waitcnt lgkmcnt(8)
	v_dual_mul_f32 v42, v2, v80 :: v_dual_mul_f32 v125, v9, v101
	v_mul_f32_e32 v84, v15, v84
	v_mul_f32_e32 v82, v11, v82
	v_dual_mul_f32 v80, v3, v80 :: v_dual_mul_f32 v101, v8, v101
	v_dual_mul_f32 v68, v7, v68 :: v_dual_fmac_f32 v121, v54, v15
	v_dual_mul_f32 v124, v13, v105 :: v_dual_fmac_f32 v123, v52, v11
	s_waitcnt vmcnt(10) lgkmcnt(7)
	v_dual_mul_f32 v105, v12, v105 :: v_dual_mul_f32 v126, v89, v103
	v_mul_f32_e32 v103, v88, v103
	s_waitcnt lgkmcnt(6)
	v_mul_f32_e32 v127, v5, v116
	s_waitcnt lgkmcnt(5)
	v_mul_f32_e32 v128, v1, v118
	v_dual_mul_f32 v116, v4, v116 :: v_dual_fmac_f32 v101, v77, v9
	v_mul_f32_e32 v118, v0, v118
	v_fma_f32 v14, v54, v14, -v84
	v_fma_f32 v12, v79, v12, -v124
	v_fmac_f32_e32 v105, v79, v13
	v_fma_f32 v13, v67, v88, -v126
	v_dual_fmac_f32 v103, v67, v89 :: v_dual_fmac_f32 v122, v50, v7
	v_fma_f32 v7, v52, v10, -v82
	v_fma_f32 v6, v50, v6, -v68
	;; [unrolled: 1-line block ×4, first 2 shown]
	s_waitcnt vmcnt(8)
	v_dual_fmac_f32 v116, v71, v5 :: v_dual_mul_f32 v5, v36, v104
	v_fmac_f32_e32 v42, v48, v3
	v_fma_f32 v2, v48, v2, -v80
	v_fma_f32 v0, v73, v0, -v128
	s_waitcnt lgkmcnt(3)
	v_dual_fmac_f32 v118, v73, v1 :: v_dual_mul_f32 v9, v38, v95
	v_mul_f32_e32 v1, v26, v93
	s_waitcnt vmcnt(7) lgkmcnt(2)
	v_dual_mul_f32 v3, v37, v104 :: v_dual_mul_f32 v10, v30, v97
	v_mul_f32_e32 v11, v39, v95
	s_waitcnt vmcnt(6) lgkmcnt(1)
	v_dual_mul_f32 v15, v34, v91 :: v_dual_mul_f32 v50, v27, v93
	v_dual_mul_f32 v48, v35, v91 :: v_dual_mul_f32 v73, v32, v100
	;; [unrolled: 1-line block ×3, first 2 shown]
	s_waitcnt vmcnt(5)
	v_dual_mul_f32 v54, v33, v100 :: v_dual_mul_f32 v67, v99, v102
	v_dual_mul_f32 v68, v98, v102 :: v_dual_mul_f32 v77, v25, v117
	v_dual_mul_f32 v79, v28, v115 :: v_dual_sub_f32 v82, v42, v121
	v_dual_mul_f32 v80, v24, v117 :: v_dual_sub_f32 v89, v2, v6
	v_dual_sub_f32 v84, v122, v123 :: v_dual_sub_f32 v93, v12, v8
	v_dual_add_f32 v91, v121, v123 :: v_dual_sub_f32 v124, v12, v13
	v_dual_add_f32 v97, v8, v4 :: v_dual_sub_f32 v100, v105, v103
	v_dual_sub_f32 v102, v101, v116 :: v_dual_sub_f32 v127, v123, v122
	v_dual_sub_f32 v104, v105, v101 :: v_dual_sub_f32 v115, v103, v116
	;; [unrolled: 1-line block ×4, first 2 shown]
	v_dual_sub_f32 v130, v4, v13 :: v_dual_add_f32 v135, v42, v74
	v_dual_add_f32 v131, v12, v13 :: v_dual_add_f32 v134, v105, v103
	v_dual_sub_f32 v133, v116, v103 :: v_dual_sub_f32 v136, v2, v14
	v_dual_add_f32 v105, v105, v118 :: v_dual_add_f32 v138, v14, v7
	v_dual_sub_f32 v137, v6, v7 :: v_dual_add_f32 v12, v12, v0
	v_dual_sub_f32 v140, v14, v2 :: v_dual_fmac_f32 v9, v57, v39
	v_dual_add_f32 v142, v2, v6 :: v_dual_fmac_f32 v73, v76, v33
	v_dual_add_f32 v2, v46, v2 :: v_dual_fmac_f32 v15, v59, v35
	v_fmac_f32_e32 v1, v61, v27
	v_dual_sub_f32 v88, v14, v7 :: v_dual_sub_f32 v95, v13, v4
	v_dual_add_f32 v125, v101, v116 :: v_dual_add_f32 v128, v42, v122
	v_dual_sub_f32 v42, v42, v122 :: v_dual_sub_f32 v139, v121, v123
	v_dual_sub_f32 v141, v7, v6 :: v_dual_fmac_f32 v80, v72, v25
	v_fma_f32 v3, v78, v36, -v3
	v_dual_fmac_f32 v5, v78, v37 :: v_dual_fmac_f32 v10, v63, v31
	v_fma_f32 v11, v57, v38, -v11
	v_fma_f32 v32, v76, v32, -v54
	;; [unrolled: 1-line block ×6, first 2 shown]
	v_fmac_f32_e32 v79, v70, v29
	v_fma_f32 v30, v63, v30, -v52
	v_fma_f32 v34, v66, v98, -v67
	v_dual_fmac_f32 v68, v66, v99 :: v_dual_add_f32 v35, v129, v130
	v_dual_add_f32 v26, v82, v84 :: v_dual_add_f32 v29, v104, v115
	v_dual_add_f32 v54, v101, v105 :: v_dual_add_f32 v31, v126, v127
	v_add_f32_e32 v8, v8, v12
	v_fma_f32 v36, -0.5, v97, v0
	v_fma_f32 v37, -0.5, v131, v0
	;; [unrolled: 1-line block ×3, first 2 shown]
	v_dual_add_f32 v0, v121, v135 :: v_dual_add_f32 v57, v136, v137
	v_add_f32_e32 v2, v2, v14
	v_fma_f32 v59, -0.5, v138, v46
	s_waitcnt lgkmcnt(0)
	v_add_f32_e32 v99, v1, v87
	v_dual_add_f32 v27, v93, v95 :: v_dual_add_f32 v38, v132, v133
	v_fma_f32 v39, -0.5, v125, v118
	v_fma_f32 v50, -0.5, v91, v74
	;; [unrolled: 1-line block ×3, first 2 shown]
	v_dual_add_f32 v61, v140, v141 :: v_dual_sub_f32 v14, v10, v15
	v_fma_f32 v46, -0.5, v142, v46
	v_dual_sub_f32 v12, v1, v9 :: v_dual_sub_f32 v67, v34, v28
	v_dual_sub_f32 v63, v11, v33 :: v_dual_add_f32 v72, v73, v79
	v_dual_sub_f32 v66, v3, v32 :: v_dual_sub_f32 v71, v68, v79
	v_dual_sub_f32 v70, v5, v73 :: v_dual_sub_f32 v77, v32, v3
	v_dual_sub_f32 v74, v9, v1 :: v_dual_sub_f32 v125, v32, v28
	v_dual_sub_f32 v76, v15, v10 :: v_dual_sub_f32 v91, v25, v11
	v_dual_sub_f32 v78, v28, v34 :: v_dual_sub_f32 v93, v30, v33
	v_dual_sub_f32 v82, v73, v5 :: v_dual_sub_f32 v129, v3, v34
	v_dual_sub_f32 v84, v79, v68 :: v_dual_sub_f32 v97, v33, v30
	v_dual_sub_f32 v95, v11, v25 :: v_dual_add_f32 v98, v5, v68
	v_dual_sub_f32 v101, v25, v30 :: v_dual_add_f32 v128, v3, v24
	v_add_f32_e32 v104, v5, v80
	v_dual_add_f32 v105, v9, v15 :: v_dual_add_f32 v126, v3, v34
	v_dual_sub_f32 v115, v9, v15 :: v_dual_add_f32 v130, v11, v33
	v_add_f32_e32 v118, v32, v28
	v_dual_sub_f32 v5, v5, v68 :: v_dual_add_f32 v2, v2, v7
	v_dual_sub_f32 v121, v73, v79 :: v_dual_add_f32 v0, v123, v0
	v_dual_add_f32 v127, v45, v25 :: v_dual_add_f32 v4, v4, v8
	v_dual_add_f32 v3, v1, v10 :: v_dual_fmamk_f32 v8, v124, 0x3f737871, v39
	v_add_f32_e32 v25, v25, v30
	v_sub_f32_e32 v131, v1, v10
	v_dual_add_f32 v1, v116, v54 :: v_dual_fmamk_f32 v116, v117, 0xbf737871, v48
	v_dual_fmac_f32 v48, 0x3f737871, v117 :: v_dual_fmamk_f32 v123, v102, 0x3f737871, v37
	v_dual_fmamk_f32 v134, v42, 0xbf737871, v59 :: v_dual_add_f32 v9, v9, v99
	v_dual_fmamk_f32 v7, v89, 0x3f737871, v50 :: v_dual_add_f32 v12, v12, v14
	v_fmamk_f32 v54, v88, 0xbf737871, v52
	v_fmac_f32_e32 v52, 0x3f737871, v88
	v_dual_fmac_f32 v50, 0xbf737871, v89 :: v_dual_fmac_f32 v39, 0xbf737871, v124
	v_dual_fmac_f32 v37, 0xbf737871, v102 :: v_dual_fmamk_f32 v132, v100, 0xbf737871, v36
	v_dual_fmac_f32 v36, 0x3f737871, v100 :: v_dual_fmac_f32 v59, 0x3f737871, v42
	v_dual_fmamk_f32 v133, v139, 0x3f737871, v46 :: v_dual_add_f32 v14, v66, v67
	v_fmac_f32_e32 v46, 0xbf737871, v139
	v_dual_add_f32 v66, v70, v71 :: v_dual_add_f32 v73, v73, v104
	v_dual_add_f32 v67, v74, v76 :: v_dual_add_f32 v70, v77, v78
	;; [unrolled: 1-line block ×3, first 2 shown]
	v_fmac_f32_e32 v123, 0xbf167918, v100
	v_fma_f32 v72, -0.5, v72, v80
	v_fma_f32 v77, -0.5, v98, v80
	;; [unrolled: 1-line block ×3, first 2 shown]
	v_dual_add_f32 v82, v127, v11 :: v_dual_fmac_f32 v7, 0x3f167918, v88
	v_fma_f32 v84, -0.5, v105, v87
	v_fma_f32 v87, -0.5, v3, v87
	;; [unrolled: 1-line block ×4, first 2 shown]
	v_add_f32_e32 v3, v122, v0
	v_dual_add_f32 v11, v103, v1 :: v_dual_add_f32 v2, v6, v2
	v_dual_add_f32 v4, v13, v4 :: v_dual_fmac_f32 v39, 0xbf167918, v117
	v_fmac_f32_e32 v116, 0x3f167918, v124
	s_delay_alu instid0(VALU_DEP_3)
	v_dual_fmac_f32 v48, 0xbf167918, v124 :: v_dual_sub_f32 v1, v3, v11
	v_add_f32_e32 v6, v15, v9
	v_dual_add_f32 v76, v95, v97 :: v_dual_fmac_f32 v37, 0x3f167918, v100
	v_fma_f32 v80, -0.5, v126, v24
	v_dual_fmac_f32 v54, 0x3f167918, v89 :: v_dual_fmac_f32 v59, 0x3f167918, v139
	v_dual_fmac_f32 v52, 0xbf167918, v89 :: v_dual_fmac_f32 v133, 0xbf167918, v42
	v_dual_fmac_f32 v50, 0xbf167918, v88 :: v_dual_add_f32 v3, v3, v11
	v_add_f32_e32 v9, v79, v73
	v_fmamk_f32 v73, v5, 0xbf737871, v78
	v_dual_fmamk_f32 v79, v129, 0x3f737871, v72 :: v_dual_sub_f32 v0, v2, v4
	v_fmac_f32_e32 v46, 0x3f167918, v42
	v_fmamk_f32 v42, v101, 0x3f737871, v84
	v_fmamk_f32 v88, v63, 0xbf737871, v87
	v_fmac_f32_e32 v87, 0x3f737871, v63
	v_fmac_f32_e32 v132, 0xbf167918, v102
	v_dual_fmac_f32 v84, 0xbf737871, v101 :: v_dual_fmamk_f32 v93, v125, 0xbf737871, v77
	v_fmac_f32_e32 v77, 0x3f737871, v125
	v_fmac_f32_e32 v72, 0xbf737871, v129
	v_dual_fmac_f32 v78, 0x3f737871, v5 :: v_dual_fmamk_f32 v97, v115, 0x3f737871, v45
	v_fmac_f32_e32 v45, 0xbf737871, v115
	v_fmac_f32_e32 v8, 0x3f167918, v117
	v_dual_fmac_f32 v116, 0x3e9e377a, v38 :: v_dual_fmac_f32 v123, 0x3e9e377a, v35
	v_dual_fmac_f32 v48, 0x3e9e377a, v38 :: v_dual_fmac_f32 v37, 0x3e9e377a, v35
	v_add_f32_e32 v38, v10, v6
	v_dual_fmac_f32 v134, 0xbf167918, v139 :: v_dual_fmac_f32 v77, 0xbf167918, v129
	v_dual_fmac_f32 v36, 0x3f167918, v102 :: v_dual_fmac_f32 v93, 0x3f167918, v129
	v_dual_fmamk_f32 v89, v121, 0x3f737871, v80 :: v_dual_add_f32 v2, v2, v4
	v_dual_fmac_f32 v80, 0xbf737871, v121 :: v_dual_fmamk_f32 v95, v131, 0xbf737871, v91
	v_dual_fmac_f32 v52, 0x3e9e377a, v31 :: v_dual_fmac_f32 v39, 0x3e9e377a, v29
	s_delay_alu instid0(VALU_DEP_4)
	v_dual_fmac_f32 v134, 0x3e9e377a, v57 :: v_dual_fmac_f32 v93, 0x3e9e377a, v71
	v_fmac_f32_e32 v59, 0x3e9e377a, v57
	v_fmac_f32_e32 v87, 0xbf167918, v101
	v_fmac_f32_e32 v132, 0x3e9e377a, v27
	v_fmac_f32_e32 v79, 0x3f167918, v125
	v_add_f32_e32 v57, v68, v9
	v_dual_fmac_f32 v88, 0x3f167918, v101 :: v_dual_fmac_f32 v45, 0x3f167918, v131
	v_fmac_f32_e32 v8, 0x3e9e377a, v29
	v_dual_fmac_f32 v54, 0x3e9e377a, v31 :: v_dual_fmac_f32 v7, 0x3e9e377a, v26
	v_dual_fmac_f32 v89, 0xbf167918, v5 :: v_dual_fmac_f32 v84, 0xbf167918, v63
	v_fmac_f32_e32 v80, 0x3f167918, v5
	v_mul_f32_e32 v5, 0x3e9e377a, v116
	v_mul_f32_e32 v29, 0x3f167918, v39
	v_dual_fmac_f32 v88, 0x3e9e377a, v67 :: v_dual_fmac_f32 v79, 0x3e9e377a, v66
	v_mul_f32_e32 v4, 0x3f4f1bbd, v8
	v_dual_fmac_f32 v91, 0x3f737871, v131 :: v_dual_mul_f32 v24, 0x3f737871, v48
	v_dual_fmac_f32 v36, 0x3e9e377a, v27 :: v_dual_fmac_f32 v89, 0x3e9e377a, v70
	s_delay_alu instid0(VALU_DEP_4) | instskip(NEXT) | instid1(VALU_DEP_4)
	v_mul_f32_e32 v31, 0x3f4f1bbd, v79
	v_fma_f32 v10, 0xbf167918, v132, -v4
	v_dual_fmac_f32 v46, 0x3e9e377a, v61 :: v_dual_mul_f32 v9, 0x3e9e377a, v123
	v_fmac_f32_e32 v42, 0x3f167918, v63
	v_fmac_f32_e32 v73, 0xbf167918, v121
	v_fma_f32 v11, 0xbf737871, v123, -v5
	v_fmac_f32_e32 v78, 0x3f167918, v121
	v_dual_mul_f32 v6, 0x3f4f1bbd, v132 :: v_dual_sub_f32 v5, v7, v10
	v_dual_fmac_f32 v87, 0x3e9e377a, v67 :: v_dual_fmac_f32 v80, 0x3e9e377a, v70
	v_mul_f32_e32 v13, 0xbf737871, v37
	v_dual_fmac_f32 v50, 0x3e9e377a, v26 :: v_dual_fmac_f32 v133, 0x3e9e377a, v61
	v_dual_fmac_f32 v72, 0xbf167918, v125 :: v_dual_fmac_f32 v97, 0xbf167918, v131
	v_mul_f32_e32 v26, 0xbf167918, v36
	v_dual_fmac_f32 v77, 0x3e9e377a, v71 :: v_dual_fmac_f32 v42, 0x3e9e377a, v12
	v_dual_fmac_f32 v84, 0x3e9e377a, v12 :: v_dual_fmac_f32 v73, 0x3e9e377a, v14
	;; [unrolled: 1-line block ×3, first 2 shown]
	v_fma_f32 v12, 0x3f737871, v116, -v9
	v_add_f32_e32 v9, v7, v10
	v_dual_sub_f32 v7, v54, v11 :: v_dual_fmac_f32 v78, 0x3e9e377a, v14
	v_fmac_f32_e32 v45, 0x3e9e377a, v76
	v_add_f32_e32 v15, v54, v11
	v_fma_f32 v6, 0x3f167918, v8, -v6
	v_dual_mul_f32 v35, 0x3e9e377a, v93 :: v_dual_fmac_f32 v72, 0x3e9e377a, v66
	v_fmac_f32_e32 v97, 0x3e9e377a, v76
	v_dual_fmac_f32 v26, 0x3f4f1bbd, v39 :: v_dual_fmac_f32 v29, 0x3f4f1bbd, v36
	v_mul_f32_e32 v36, 0x3f4f1bbd, v73
	v_mul_f32_e32 v61, 0xbf167918, v78
	v_dual_sub_f32 v4, v134, v6 :: v_dual_sub_f32 v11, v52, v13
	v_dual_sub_f32 v10, v46, v24 :: v_dual_add_f32 v25, v52, v13
	v_add_f32_e32 v24, v46, v24
	v_fma_f32 v46, 0xbf737871, v89, -v35
	v_fmac_f32_e32 v95, 0xbf167918, v115
	v_dual_fmac_f32 v91, 0x3f167918, v115 :: v_dual_add_f32 v32, v32, v128
	v_mul_f32_e32 v48, 0xbf737871, v80
	v_dual_mul_f32 v37, 0x3e9e377a, v89 :: v_dual_add_f32 v8, v134, v6
	v_dual_mul_f32 v63, 0x3f737871, v77 :: v_dual_add_f32 v14, v133, v12
	v_dual_sub_f32 v6, v133, v12 :: v_dual_sub_f32 v13, v50, v26
	v_dual_sub_f32 v12, v59, v29 :: v_dual_add_f32 v27, v50, v26
	v_fma_f32 v39, 0xbf167918, v73, -v31
	v_fma_f32 v50, 0x3f167918, v79, -v36
	v_dual_sub_f32 v31, v88, v46 :: v_dual_mul_f32 v54, 0x3f167918, v72
	v_dual_add_f32 v36, v82, v33 :: v_dual_fmac_f32 v95, 0x3e9e377a, v74
	v_add_f32_e32 v28, v28, v32
	v_fmac_f32_e32 v61, 0x3f4f1bbd, v72
	s_waitcnt vmcnt(2)
	v_dual_mul_f32 v67, v22, v94 :: v_dual_mul_f32 v72, v109, v96
	v_mul_f32_e32 v70, v18, v92
	v_dual_add_f32 v26, v59, v29 :: v_dual_sub_f32 v29, v42, v39
	v_dual_fmac_f32 v48, 0x3e9e377a, v77 :: v_dual_fmac_f32 v63, 0x3e9e377a, v80
	v_dual_fmac_f32 v91, 0x3e9e377a, v74 :: v_dual_add_f32 v66, v34, v28
	v_dual_add_f32 v59, v30, v36 :: v_dual_mul_f32 v68, v23, v94
	v_add_f32_e32 v39, v42, v39
	s_waitcnt vmcnt(1)
	v_dual_mul_f32 v71, v19, v92 :: v_dual_mul_f32 v74, v113, v90
	v_fmac_f32_e32 v67, v56, v23
	v_dual_fmac_f32 v70, v60, v19 :: v_dual_mul_f32 v23, v114, v90
	v_sub_f32_e32 v32, v45, v63
	v_dual_sub_f32 v36, v59, v66 :: v_dual_mul_f32 v73, v110, v96
	v_fmac_f32_e32 v72, v62, v110
	v_fmac_f32_e32 v74, v58, v114
	v_fma_f32 v58, v58, v113, -v23
	v_mul_f32_e32 v23, v21, v81
	v_dual_add_f32 v19, v88, v46 :: v_dual_sub_f32 v42, v70, v67
	v_fma_f32 v46, v60, v18, -v71
	v_fma_f32 v60, v62, v109, -v73
	;; [unrolled: 1-line block ×4, first 2 shown]
	v_dual_mul_f32 v23, v108, v83 :: v_dual_add_f32 v22, v67, v74
	v_dual_mul_f32 v81, v20, v81 :: v_dual_mul_f32 v80, v107, v83
	v_sub_f32_e32 v18, v72, v74
	s_delay_alu instid0(VALU_DEP_3) | instskip(SKIP_1) | instid1(VALU_DEP_4)
	v_fma_f32 v79, v53, v107, -v23
	v_dual_sub_f32 v33, v87, v48 :: v_dual_fmac_f32 v54, 0x3f4f1bbd, v78
	v_fmac_f32_e32 v81, v49, v21
	s_waitcnt vmcnt(0)
	v_dual_fmac_f32 v80, v53, v108 :: v_dual_mul_f32 v53, v119, v69
	v_fma_f32 v71, -0.5, v22, v86
	v_mul_f32_e32 v22, v120, v69
	v_sub_f32_e32 v62, v46, v60
	v_fma_f32 v52, 0x3f737871, v93, -v37
	v_fmac_f32_e32 v53, v51, v120
	v_mul_f32_e32 v78, v111, v85
	v_fma_f32 v77, v51, v119, -v22
	v_dual_sub_f32 v28, v95, v50 :: v_dual_sub_f32 v35, v84, v61
	v_sub_f32_e32 v30, v97, v52
	s_delay_alu instid0(VALU_DEP_4)
	v_fmac_f32_e32 v78, v55, v112
	v_mul_f32_e32 v68, v112, v85
	v_sub_f32_e32 v49, v81, v53
	v_sub_f32_e32 v21, v77, v79
	v_sub_f32_e32 v89, v56, v58
	v_add_f32_e32 v42, v42, v18
	v_fma_f32 v68, v55, v111, -v68
	v_mul_f32_e32 v55, v16, v75
	v_mul_f32_e32 v76, v17, v75
	v_fmamk_f32 v90, v62, 0x3f737871, v71
	v_add_f32_e32 v23, v38, v57
	v_sub_f32_e32 v51, v68, v79
	v_fmac_f32_e32 v55, v47, v17
	v_fma_f32 v76, v47, v16, -v76
	v_sub_f32_e32 v47, v73, v77
	v_dual_add_f32 v17, v78, v80 :: v_dual_add_f32 v16, v68, v79
	v_sub_f32_e32 v20, v73, v68
	v_sub_f32_e32 v85, v78, v80
	v_add_f32_e32 v18, v97, v52
	s_delay_alu instid0(VALU_DEP_4) | instskip(SKIP_3) | instid1(VALU_DEP_4)
	v_fma_f32 v75, -0.5, v17, v55
	v_fma_f32 v69, -0.5, v16, v76
	v_sub_f32_e32 v16, v81, v78
	v_dual_sub_f32 v17, v53, v80 :: v_dual_add_f32 v92, v20, v21
	v_fmamk_f32 v82, v47, 0x3f737871, v75
	s_delay_alu instid0(VALU_DEP_4) | instskip(SKIP_1) | instid1(VALU_DEP_4)
	v_fmamk_f32 v83, v49, 0xbf737871, v69
	v_add_f32_e32 v21, v84, v61
	v_dual_add_f32 v88, v16, v17 :: v_dual_add_f32 v17, v87, v48
	s_delay_alu instid0(VALU_DEP_4) | instskip(NEXT) | instid1(VALU_DEP_4)
	v_fmac_f32_e32 v82, 0x3f167918, v51
	v_dual_add_f32 v48, v70, v72 :: v_dual_fmac_f32 v83, 0xbf167918, v85
	v_dual_sub_f32 v37, v38, v57 :: v_dual_sub_f32 v34, v91, v54
	s_delay_alu instid0(VALU_DEP_3) | instskip(NEXT) | instid1(VALU_DEP_3)
	v_fmac_f32_e32 v82, 0x3e9e377a, v88
	v_fma_f32 v61, -0.5, v48, v86
	v_dual_add_f32 v22, v59, v66 :: v_dual_sub_f32 v59, v74, v72
	v_dual_fmac_f32 v83, 0x3e9e377a, v92 :: v_dual_add_f32 v38, v95, v50
	s_delay_alu instid0(VALU_DEP_4) | instskip(NEXT) | instid1(VALU_DEP_4)
	v_mul_f32_e32 v16, 0x3f4f1bbd, v82
	v_fmamk_f32 v93, v89, 0xbf737871, v61
	v_add_f32_e32 v52, v81, v53
	v_sub_f32_e32 v48, v68, v73
	v_add_f32_e32 v20, v91, v54
	v_fma_f32 v57, 0xbf167918, v83, -v16
	v_fmac_f32_e32 v93, 0x3f167918, v62
	v_fma_f32 v52, -0.5, v52, v55
	v_dual_add_f32 v16, v45, v63 :: v_dual_sub_f32 v63, v79, v77
	v_fmac_f32_e32 v61, 0x3f737871, v89
	s_delay_alu instid0(VALU_DEP_3) | instskip(SKIP_1) | instid1(VALU_DEP_4)
	v_dual_sub_f32 v84, v80, v53 :: v_dual_fmamk_f32 v87, v51, 0xbf737871, v52
	v_fmac_f32_e32 v52, 0x3f737871, v51
	v_add_f32_e32 v48, v48, v63
	v_add_f32_e32 v54, v73, v77
	v_fmac_f32_e32 v69, 0x3f737871, v49
	v_fmac_f32_e32 v87, 0x3f167918, v47
	v_fmac_f32_e32 v75, 0xbf737871, v47
	v_fmac_f32_e32 v71, 0xbf737871, v62
	v_fma_f32 v54, -0.5, v54, v76
	v_dual_fmac_f32 v52, 0xbf167918, v47 :: v_dual_add_f32 v47, v70, v86
	v_fmac_f32_e32 v61, 0xbf167918, v62
	s_delay_alu instid0(VALU_DEP_4) | instskip(NEXT) | instid1(VALU_DEP_4)
	v_fmac_f32_e32 v71, 0xbf167918, v89
	v_dual_fmamk_f32 v91, v85, 0x3f737871, v54 :: v_dual_sub_f32 v50, v67, v70
	s_delay_alu instid0(VALU_DEP_4) | instskip(SKIP_1) | instid1(VALU_DEP_3)
	v_dual_fmac_f32 v54, 0xbf737871, v85 :: v_dual_add_f32 v47, v67, v47
	v_fmac_f32_e32 v69, 0x3f167918, v85
	v_dual_fmac_f32 v91, 0xbf167918, v49 :: v_dual_add_f32 v50, v50, v59
	v_sub_f32_e32 v66, v78, v81
	s_delay_alu instid0(VALU_DEP_4) | instskip(SKIP_1) | instid1(VALU_DEP_4)
	v_fmac_f32_e32 v54, 0x3f167918, v49
	v_fmac_f32_e32 v71, 0x3e9e377a, v42
	;; [unrolled: 1-line block ×4, first 2 shown]
	v_dual_fmac_f32 v90, 0x3f167918, v89 :: v_dual_add_f32 v63, v66, v84
	v_dual_fmac_f32 v54, 0x3e9e377a, v48 :: v_dual_fmac_f32 v61, 0x3e9e377a, v50
	v_add_f32_e32 v48, v81, v55
	s_delay_alu instid0(VALU_DEP_3) | instskip(SKIP_1) | instid1(VALU_DEP_3)
	v_dual_fmac_f32 v90, 0x3e9e377a, v42 :: v_dual_fmac_f32 v87, 0x3e9e377a, v63
	v_fmac_f32_e32 v52, 0x3e9e377a, v63
	v_dual_mul_f32 v63, 0xbf737871, v54 :: v_dual_add_f32 v48, v78, v48
	v_fmac_f32_e32 v69, 0x3e9e377a, v92
	s_delay_alu instid0(VALU_DEP_4) | instskip(SKIP_1) | instid1(VALU_DEP_4)
	v_mul_f32_e32 v59, 0x3e9e377a, v87
	v_fmac_f32_e32 v75, 0xbf167918, v51
	v_dual_fmac_f32 v63, 0x3e9e377a, v52 :: v_dual_add_f32 v42, v56, v58
	v_add_f32_e32 v48, v80, v48
	s_delay_alu instid0(VALU_DEP_4) | instskip(SKIP_1) | instid1(VALU_DEP_4)
	v_fma_f32 v59, 0xbf737871, v91, -v59
	v_dual_mul_f32 v62, 0xbf167918, v69 :: v_dual_add_f32 v47, v74, v47
	v_fma_f32 v80, -0.5, v42, v44
	s_delay_alu instid0(VALU_DEP_4) | instskip(SKIP_4) | instid1(VALU_DEP_4)
	v_add_f32_e32 v78, v53, v48
	v_fmac_f32_e32 v75, 0x3e9e377a, v88
	v_add_f32_e32 v48, v46, v60
	v_add_f32_e32 v66, v72, v47
	v_dual_sub_f32 v47, v93, v59 :: v_dual_sub_f32 v42, v70, v72
	v_dual_fmac_f32 v62, 0x3f4f1bbd, v75 :: v_dual_sub_f32 v55, v67, v74
	v_sub_f32_e32 v74, v58, v60
	v_fma_f32 v67, -0.5, v48, v44
	v_dual_sub_f32 v49, v61, v63 :: v_dual_sub_f32 v50, v46, v56
	v_sub_f32_e32 v53, v66, v78
	v_dual_sub_f32 v51, v71, v62 :: v_dual_fmamk_f32 v70, v42, 0xbf737871, v80
	s_delay_alu instid0(VALU_DEP_4) | instskip(SKIP_2) | instid1(VALU_DEP_3)
	v_dual_sub_f32 v48, v60, v58 :: v_dual_fmamk_f32 v81, v55, 0x3f737871, v67
	v_dual_sub_f32 v72, v56, v46 :: v_dual_fmac_f32 v67, 0xbf737871, v55
	v_dual_fmac_f32 v80, 0x3f737871, v42 :: v_dual_sub_f32 v45, v90, v57
	v_dual_add_f32 v48, v50, v48 :: v_dual_fmac_f32 v81, 0xbf167918, v42
	v_fmac_f32_e32 v70, 0xbf167918, v55
	s_delay_alu instid0(VALU_DEP_4) | instskip(NEXT) | instid1(VALU_DEP_4)
	v_add_f32_e32 v72, v72, v74
	v_dual_fmac_f32 v67, 0x3f167918, v42 :: v_dual_fmac_f32 v80, 0x3f167918, v55
	v_add_f32_e32 v55, v90, v57
	v_add_f32_e32 v57, v61, v63
	s_delay_alu instid0(VALU_DEP_4) | instskip(SKIP_3) | instid1(VALU_DEP_4)
	v_dual_mul_f32 v74, 0x3e9e377a, v91 :: v_dual_fmac_f32 v81, 0x3e9e377a, v72
	v_add_f32_e32 v44, v44, v46
	v_add_f32_e32 v46, v73, v76
	v_fmac_f32_e32 v67, 0x3e9e377a, v72
	v_fma_f32 v74, 0x3f737871, v87, -v74
	v_mul_f32_e32 v50, 0x3f4f1bbd, v83
	v_add_f32_e32 v42, v44, v56
	v_mul_f32_e32 v56, 0x3f737871, v52
	v_add_f32_e32 v44, v68, v46
	v_dual_fmac_f32 v70, 0x3e9e377a, v48 :: v_dual_add_f32 v61, v66, v78
	s_delay_alu instid0(VALU_DEP_4) | instskip(NEXT) | instid1(VALU_DEP_4)
	v_add_f32_e32 v42, v42, v58
	v_fmac_f32_e32 v56, 0x3e9e377a, v54
	s_delay_alu instid0(VALU_DEP_4)
	v_add_f32_e32 v44, v79, v44
	v_mul_f32_e32 v68, 0x3f167918, v75
	v_fmac_f32_e32 v80, 0x3e9e377a, v48
	v_add_f32_e32 v54, v60, v42
	v_mul_hi_u32 v42, 0x1b4e81b5, v106
	v_add_f32_e32 v60, v77, v44
	v_fmac_f32_e32 v68, 0x3f4f1bbd, v69
	v_sub_f32_e32 v48, v67, v56
	v_add_f32_e32 v56, v67, v56
	v_sub_f32_e32 v46, v81, v74
	v_sub_f32_e32 v52, v54, v60
	v_add_f32_e32 v60, v54, v60
	v_lshrrev_b32_e32 v58, 5, v42
	v_dual_add_f32 v42, v93, v59 :: v_dual_add_f32 v59, v71, v62
	v_lshlrev_b64 v[62:63], 3, v[64:65]
	v_fma_f32 v82, 0x3f167918, v82, -v50
	s_delay_alu instid0(VALU_DEP_4)
	v_mul_u32_u24_e32 v66, 0x12c, v58
	v_sub_f32_e32 v50, v80, v68
	v_add_f32_e32 v58, v80, v68
	v_add_nc_u32_e32 v68, 0x64, v106
	v_add_co_u32 v62, vcc_lo, s6, v62
	v_sub_nc_u32_e32 v54, v106, v66
	v_add_co_ci_u32_e32 v63, vcc_lo, s7, v63, vcc_lo
	s_delay_alu instid0(VALU_DEP_3) | instskip(NEXT) | instid1(VALU_DEP_3)
	v_add_co_u32 v66, vcc_lo, v62, v40
	v_lshlrev_b32_e32 v54, 3, v54
	s_delay_alu instid0(VALU_DEP_3) | instskip(SKIP_2) | instid1(VALU_DEP_4)
	v_add_co_ci_u32_e32 v67, vcc_lo, v63, v41, vcc_lo
	v_mul_hi_u32 v40, 0x1b4e81b5, v68
	v_add_f32_e32 v41, v81, v74
	v_add_co_u32 v62, vcc_lo, v66, v54
	s_delay_alu instid0(VALU_DEP_4) | instskip(SKIP_1) | instid1(VALU_DEP_3)
	v_add_co_ci_u32_e32 v63, vcc_lo, 0, v67, vcc_lo
	v_add_f32_e32 v54, v70, v82
	v_add_co_u32 v64, vcc_lo, 0x1000, v62
	s_delay_alu instid0(VALU_DEP_3)
	v_add_co_ci_u32_e32 v65, vcc_lo, 0, v63, vcc_lo
	s_clause 0x3
	global_store_b64 v[62:63], v[60:61], off
	global_store_b64 v[62:63], v[58:59], off offset:2400
	global_store_b64 v[64:65], v[56:57], off offset:704
	;; [unrolled: 1-line block ×3, first 2 shown]
	v_lshrrev_b32_e32 v42, 5, v40
	v_add_co_u32 v40, vcc_lo, 0x2000, v62
	v_add_co_ci_u32_e32 v41, vcc_lo, 0, v63, vcc_lo
	s_delay_alu instid0(VALU_DEP_3) | instskip(SKIP_2) | instid1(VALU_DEP_3)
	v_mul_u32_u24_e32 v58, 0x12c, v42
	v_add_co_u32 v56, vcc_lo, 0x3000, v62
	v_add_co_ci_u32_e32 v57, vcc_lo, 0, v63, vcc_lo
	v_sub_nc_u32_e32 v60, v68, v58
	v_add_co_u32 v58, vcc_lo, 0x4000, v62
	v_add_co_ci_u32_e32 v59, vcc_lo, 0, v63, vcc_lo
	s_delay_alu instid0(VALU_DEP_3) | instskip(SKIP_3) | instid1(VALU_DEP_4)
	v_mad_u32_u24 v42, 0xbb8, v42, v60
	v_add_co_u32 v60, vcc_lo, 0x5000, v62
	v_sub_f32_e32 v44, v70, v82
	v_add_co_ci_u32_e32 v61, vcc_lo, 0, v63, vcc_lo
	v_dual_mov_b32 v63, v43 :: v_dual_add_nc_u32 v62, 0x12c, v42
	s_clause 0x3
	global_store_b64 v[40:41], v[54:55], off offset:1408
	global_store_b64 v[40:41], v[52:53], off offset:3808
	;; [unrolled: 1-line block ×4, first 2 shown]
	v_lshlrev_b64 v[40:41], 3, v[42:43]
	s_clause 0x1
	global_store_b64 v[58:59], v[46:47], off offset:2816
	global_store_b64 v[60:61], v[44:45], off offset:1120
	v_dual_mov_b32 v47, v43 :: v_dual_add_nc_u32 v46, 0x258, v42
	v_lshlrev_b64 v[44:45], 3, v[62:63]
	v_dual_mov_b32 v49, v43 :: v_dual_add_nc_u32 v48, 0x384, v42
	v_add_co_u32 v40, vcc_lo, v66, v40
	s_delay_alu instid0(VALU_DEP_4)
	v_lshlrev_b64 v[46:47], 3, v[46:47]
	v_add_co_ci_u32_e32 v41, vcc_lo, v67, v41, vcc_lo
	v_add_co_u32 v44, vcc_lo, v66, v44
	v_lshlrev_b64 v[48:49], 3, v[48:49]
	v_add_co_ci_u32_e32 v45, vcc_lo, v67, v45, vcc_lo
	v_add_co_u32 v46, vcc_lo, v66, v46
	v_add_co_ci_u32_e32 v47, vcc_lo, v67, v47, vcc_lo
	s_delay_alu instid0(VALU_DEP_4)
	v_add_co_u32 v48, vcc_lo, v66, v48
	v_add_co_ci_u32_e32 v49, vcc_lo, v67, v49, vcc_lo
	s_clause 0x3
	global_store_b64 v[40:41], v[22:23], off
	global_store_b64 v[44:45], v[20:21], off
	;; [unrolled: 1-line block ×4, first 2 shown]
	v_add_nc_u32_e32 v46, 0xc8, v106
	v_dual_mov_b32 v51, v43 :: v_dual_add_nc_u32 v50, 0x4b0, v42
	v_dual_mov_b32 v17, v43 :: v_dual_add_nc_u32 v16, 0x5dc, v42
	s_delay_alu instid0(VALU_DEP_3) | instskip(SKIP_1) | instid1(VALU_DEP_4)
	v_mul_hi_u32 v44, 0x1b4e81b5, v46
	v_add_nc_u32_e32 v20, 0x708, v42
	v_lshlrev_b64 v[50:51], 3, v[50:51]
	v_dual_mov_b32 v21, v43 :: v_dual_add_nc_u32 v22, 0x834, v42
	v_add_nc_u32_e32 v40, 0x960, v42
	v_add_nc_u32_e32 v42, 0xa8c, v42
	v_lshlrev_b64 v[16:17], 3, v[16:17]
	v_lshrrev_b32_e32 v47, 5, v44
	v_mov_b32_e32 v23, v43
	v_add_co_u32 v18, vcc_lo, v66, v50
	v_lshlrev_b64 v[20:21], 3, v[20:21]
	s_delay_alu instid0(VALU_DEP_4) | instskip(SKIP_3) | instid1(VALU_DEP_4)
	v_mul_u32_u24_e32 v48, 0x12c, v47
	v_lshlrev_b64 v[44:45], 3, v[42:43]
	v_add_co_ci_u32_e32 v19, vcc_lo, v67, v51, vcc_lo
	v_mov_b32_e32 v41, v43
	v_sub_nc_u32_e32 v42, v46, v48
	v_add_co_u32 v16, vcc_lo, v66, v16
	v_lshlrev_b64 v[22:23], 3, v[22:23]
	v_add_co_ci_u32_e32 v17, vcc_lo, v67, v17, vcc_lo
	v_add_co_u32 v20, vcc_lo, v66, v20
	v_mad_u32_u24 v42, 0xbb8, v47, v42
	v_lshlrev_b64 v[40:41], 3, v[40:41]
	v_add_co_ci_u32_e32 v21, vcc_lo, v67, v21, vcc_lo
	v_add_co_u32 v22, vcc_lo, v66, v22
	v_add_co_ci_u32_e32 v23, vcc_lo, v67, v23, vcc_lo
	v_dual_mov_b32 v47, v43 :: v_dual_add_nc_u32 v46, 0x12c, v42
	v_add_co_u32 v40, vcc_lo, v66, v40
	s_clause 0x3
	global_store_b64 v[18:19], v[38:39], off
	global_store_b64 v[16:17], v[36:37], off
	;; [unrolled: 1-line block ×4, first 2 shown]
	v_lshlrev_b64 v[16:17], 3, v[42:43]
	v_dual_mov_b32 v21, v43 :: v_dual_add_nc_u32 v20, 0x258, v42
	v_add_co_ci_u32_e32 v41, vcc_lo, v67, v41, vcc_lo
	v_add_co_u32 v44, vcc_lo, v66, v44
	v_lshlrev_b64 v[18:19], 3, v[46:47]
	v_dual_mov_b32 v23, v43 :: v_dual_add_nc_u32 v22, 0x384, v42
	v_add_co_ci_u32_e32 v45, vcc_lo, v67, v45, vcc_lo
	v_add_co_u32 v16, vcc_lo, v66, v16
	v_lshlrev_b64 v[20:21], 3, v[20:21]
	v_add_co_ci_u32_e32 v17, vcc_lo, v67, v17, vcc_lo
	v_add_co_u32 v18, vcc_lo, v66, v18
	v_lshlrev_b64 v[22:23], 3, v[22:23]
	v_add_co_ci_u32_e32 v19, vcc_lo, v67, v19, vcc_lo
	v_add_co_u32 v20, vcc_lo, v66, v20
	s_clause 0x1
	global_store_b64 v[40:41], v[30:31], off
	global_store_b64 v[44:45], v[28:29], off
	v_dual_mov_b32 v29, v43 :: v_dual_add_nc_u32 v28, 0x4b0, v42
	v_add_co_ci_u32_e32 v21, vcc_lo, v67, v21, vcc_lo
	v_add_co_u32 v22, vcc_lo, v66, v22
	v_dual_mov_b32 v31, v43 :: v_dual_add_nc_u32 v30, 0x5dc, v42
	v_add_co_ci_u32_e32 v23, vcc_lo, v67, v23, vcc_lo
	v_lshlrev_b64 v[28:29], 3, v[28:29]
	s_clause 0x3
	global_store_b64 v[16:17], v[2:3], off
	global_store_b64 v[18:19], v[26:27], off
	;; [unrolled: 1-line block ×4, first 2 shown]
	v_dual_mov_b32 v15, v43 :: v_dual_add_nc_u32 v14, 0x708, v42
	v_lshlrev_b64 v[2:3], 3, v[30:31]
	v_dual_mov_b32 v19, v43 :: v_dual_add_nc_u32 v18, 0x834, v42
	v_add_co_u32 v16, vcc_lo, v66, v28
	s_delay_alu instid0(VALU_DEP_4)
	v_lshlrev_b64 v[14:15], 3, v[14:15]
	v_dual_mov_b32 v21, v43 :: v_dual_add_nc_u32 v20, 0x960, v42
	v_add_co_ci_u32_e32 v17, vcc_lo, v67, v29, vcc_lo
	v_add_co_u32 v2, vcc_lo, v66, v2
	v_lshlrev_b64 v[18:19], 3, v[18:19]
	v_add_nc_u32_e32 v42, 0xa8c, v42
	v_add_co_ci_u32_e32 v3, vcc_lo, v67, v3, vcc_lo
	v_add_co_u32 v14, vcc_lo, v66, v14
	v_lshlrev_b64 v[20:21], 3, v[20:21]
	v_add_co_ci_u32_e32 v15, vcc_lo, v67, v15, vcc_lo
	v_add_co_u32 v18, vcc_lo, v66, v18
	v_lshlrev_b64 v[22:23], 3, v[42:43]
	v_add_co_ci_u32_e32 v19, vcc_lo, v67, v19, vcc_lo
	v_add_co_u32 v20, vcc_lo, v66, v20
	v_add_co_ci_u32_e32 v21, vcc_lo, v67, v21, vcc_lo
	s_delay_alu instid0(VALU_DEP_4)
	v_add_co_u32 v22, vcc_lo, v66, v22
	v_add_co_ci_u32_e32 v23, vcc_lo, v67, v23, vcc_lo
	s_clause 0x5
	global_store_b64 v[16:17], v[8:9], off
	global_store_b64 v[2:3], v[0:1], off
	global_store_b64 v[14:15], v[12:13], off
	global_store_b64 v[18:19], v[10:11], off
	global_store_b64 v[20:21], v[6:7], off
	global_store_b64 v[22:23], v[4:5], off
.LBB0_15:
	s_nop 0
	s_sendmsg sendmsg(MSG_DEALLOC_VGPRS)
	s_endpgm
	.section	.rodata,"a",@progbits
	.p2align	6, 0x0
	.amdhsa_kernel fft_rtc_fwd_len3000_factors_10_3_10_10_wgs_100_tpt_100_halfLds_sp_op_CI_CI_unitstride_sbrr_dirReg
		.amdhsa_group_segment_fixed_size 0
		.amdhsa_private_segment_fixed_size 0
		.amdhsa_kernarg_size 104
		.amdhsa_user_sgpr_count 15
		.amdhsa_user_sgpr_dispatch_ptr 0
		.amdhsa_user_sgpr_queue_ptr 0
		.amdhsa_user_sgpr_kernarg_segment_ptr 1
		.amdhsa_user_sgpr_dispatch_id 0
		.amdhsa_user_sgpr_private_segment_size 0
		.amdhsa_wavefront_size32 1
		.amdhsa_uses_dynamic_stack 0
		.amdhsa_enable_private_segment 0
		.amdhsa_system_sgpr_workgroup_id_x 1
		.amdhsa_system_sgpr_workgroup_id_y 0
		.amdhsa_system_sgpr_workgroup_id_z 0
		.amdhsa_system_sgpr_workgroup_info 0
		.amdhsa_system_vgpr_workitem_id 0
		.amdhsa_next_free_vgpr 143
		.amdhsa_next_free_sgpr 27
		.amdhsa_reserve_vcc 1
		.amdhsa_float_round_mode_32 0
		.amdhsa_float_round_mode_16_64 0
		.amdhsa_float_denorm_mode_32 3
		.amdhsa_float_denorm_mode_16_64 3
		.amdhsa_dx10_clamp 1
		.amdhsa_ieee_mode 1
		.amdhsa_fp16_overflow 0
		.amdhsa_workgroup_processor_mode 1
		.amdhsa_memory_ordered 1
		.amdhsa_forward_progress 0
		.amdhsa_shared_vgpr_count 0
		.amdhsa_exception_fp_ieee_invalid_op 0
		.amdhsa_exception_fp_denorm_src 0
		.amdhsa_exception_fp_ieee_div_zero 0
		.amdhsa_exception_fp_ieee_overflow 0
		.amdhsa_exception_fp_ieee_underflow 0
		.amdhsa_exception_fp_ieee_inexact 0
		.amdhsa_exception_int_div_zero 0
	.end_amdhsa_kernel
	.text
.Lfunc_end0:
	.size	fft_rtc_fwd_len3000_factors_10_3_10_10_wgs_100_tpt_100_halfLds_sp_op_CI_CI_unitstride_sbrr_dirReg, .Lfunc_end0-fft_rtc_fwd_len3000_factors_10_3_10_10_wgs_100_tpt_100_halfLds_sp_op_CI_CI_unitstride_sbrr_dirReg
                                        ; -- End function
	.section	.AMDGPU.csdata,"",@progbits
; Kernel info:
; codeLenInByte = 17460
; NumSgprs: 29
; NumVgprs: 143
; ScratchSize: 0
; MemoryBound: 0
; FloatMode: 240
; IeeeMode: 1
; LDSByteSize: 0 bytes/workgroup (compile time only)
; SGPRBlocks: 3
; VGPRBlocks: 17
; NumSGPRsForWavesPerEU: 29
; NumVGPRsForWavesPerEU: 143
; Occupancy: 10
; WaveLimiterHint : 1
; COMPUTE_PGM_RSRC2:SCRATCH_EN: 0
; COMPUTE_PGM_RSRC2:USER_SGPR: 15
; COMPUTE_PGM_RSRC2:TRAP_HANDLER: 0
; COMPUTE_PGM_RSRC2:TGID_X_EN: 1
; COMPUTE_PGM_RSRC2:TGID_Y_EN: 0
; COMPUTE_PGM_RSRC2:TGID_Z_EN: 0
; COMPUTE_PGM_RSRC2:TIDIG_COMP_CNT: 0
	.text
	.p2alignl 7, 3214868480
	.fill 96, 4, 3214868480
	.type	__hip_cuid_a4b0af5859624486,@object ; @__hip_cuid_a4b0af5859624486
	.section	.bss,"aw",@nobits
	.globl	__hip_cuid_a4b0af5859624486
__hip_cuid_a4b0af5859624486:
	.byte	0                               ; 0x0
	.size	__hip_cuid_a4b0af5859624486, 1

	.ident	"AMD clang version 19.0.0git (https://github.com/RadeonOpenCompute/llvm-project roc-6.4.0 25133 c7fe45cf4b819c5991fe208aaa96edf142730f1d)"
	.section	".note.GNU-stack","",@progbits
	.addrsig
	.addrsig_sym __hip_cuid_a4b0af5859624486
	.amdgpu_metadata
---
amdhsa.kernels:
  - .args:
      - .actual_access:  read_only
        .address_space:  global
        .offset:         0
        .size:           8
        .value_kind:     global_buffer
      - .offset:         8
        .size:           8
        .value_kind:     by_value
      - .actual_access:  read_only
        .address_space:  global
        .offset:         16
        .size:           8
        .value_kind:     global_buffer
      - .actual_access:  read_only
        .address_space:  global
        .offset:         24
        .size:           8
        .value_kind:     global_buffer
      - .actual_access:  read_only
        .address_space:  global
        .offset:         32
        .size:           8
        .value_kind:     global_buffer
      - .offset:         40
        .size:           8
        .value_kind:     by_value
      - .actual_access:  read_only
        .address_space:  global
        .offset:         48
        .size:           8
        .value_kind:     global_buffer
      - .actual_access:  read_only
        .address_space:  global
        .offset:         56
        .size:           8
        .value_kind:     global_buffer
      - .offset:         64
        .size:           4
        .value_kind:     by_value
      - .actual_access:  read_only
        .address_space:  global
        .offset:         72
        .size:           8
        .value_kind:     global_buffer
      - .actual_access:  read_only
        .address_space:  global
        .offset:         80
        .size:           8
        .value_kind:     global_buffer
      - .actual_access:  read_only
        .address_space:  global
        .offset:         88
        .size:           8
        .value_kind:     global_buffer
      - .actual_access:  write_only
        .address_space:  global
        .offset:         96
        .size:           8
        .value_kind:     global_buffer
    .group_segment_fixed_size: 0
    .kernarg_segment_align: 8
    .kernarg_segment_size: 104
    .language:       OpenCL C
    .language_version:
      - 2
      - 0
    .max_flat_workgroup_size: 100
    .name:           fft_rtc_fwd_len3000_factors_10_3_10_10_wgs_100_tpt_100_halfLds_sp_op_CI_CI_unitstride_sbrr_dirReg
    .private_segment_fixed_size: 0
    .sgpr_count:     29
    .sgpr_spill_count: 0
    .symbol:         fft_rtc_fwd_len3000_factors_10_3_10_10_wgs_100_tpt_100_halfLds_sp_op_CI_CI_unitstride_sbrr_dirReg.kd
    .uniform_work_group_size: 1
    .uses_dynamic_stack: false
    .vgpr_count:     143
    .vgpr_spill_count: 0
    .wavefront_size: 32
    .workgroup_processor_mode: 1
amdhsa.target:   amdgcn-amd-amdhsa--gfx1100
amdhsa.version:
  - 1
  - 2
...

	.end_amdgpu_metadata
